;; amdgpu-corpus repo=ROCm/rocFFT kind=compiled arch=gfx1201 opt=O3
	.text
	.amdgcn_target "amdgcn-amd-amdhsa--gfx1201"
	.amdhsa_code_object_version 6
	.protected	bluestein_single_fwd_len1638_dim1_dp_op_CI_CI ; -- Begin function bluestein_single_fwd_len1638_dim1_dp_op_CI_CI
	.globl	bluestein_single_fwd_len1638_dim1_dp_op_CI_CI
	.p2align	8
	.type	bluestein_single_fwd_len1638_dim1_dp_op_CI_CI,@function
bluestein_single_fwd_len1638_dim1_dp_op_CI_CI: ; @bluestein_single_fwd_len1638_dim1_dp_op_CI_CI
; %bb.0:
	s_load_b128 s[8:11], s[0:1], 0x28
	v_mul_u32_u24_e32 v1, 0x169, v0
	s_mov_b32 s2, exec_lo
	v_mov_b32_e32 v4, 0
	s_delay_alu instid0(VALU_DEP_2) | instskip(NEXT) | instid1(VALU_DEP_1)
	v_lshrrev_b32_e32 v1, 16, v1
	v_add_nc_u32_e32 v3, ttmp9, v1
	s_delay_alu instid0(VALU_DEP_1)
	v_mov_b32_e32 v2, v3
	scratch_store_b64 off, v[2:3], off offset:4 ; 8-byte Folded Spill
	s_wait_kmcnt 0x0
	v_cmpx_gt_u64_e64 s[8:9], v[3:4]
	s_cbranch_execz .LBB0_31
; %bb.1:
	s_clause 0x1
	s_load_b64 s[8:9], s[0:1], 0x0
	s_load_b64 s[12:13], s[0:1], 0x38
	v_mul_lo_u16 v1, 0xb6, v1
	s_delay_alu instid0(VALU_DEP_1) | instskip(NEXT) | instid1(VALU_DEP_1)
	v_sub_nc_u16 v0, v0, v1
	v_and_b32_e32 v1, 0xffff, v0
	v_cmp_gt_u16_e32 vcc_lo, 0x7e, v0
	s_delay_alu instid0(VALU_DEP_2)
	v_lshlrev_b32_e32 v255, 4, v1
	scratch_store_b32 off, v1, off          ; 4-byte Folded Spill
	s_and_saveexec_b32 s3, vcc_lo
	s_cbranch_execz .LBB0_3
; %bb.2:
	s_clause 0x1
	scratch_load_b64 v[0:1], off, off offset:4
	scratch_load_b32 v5, off, off
	s_load_b64 s[4:5], s[0:1], 0x18
	s_wait_kmcnt 0x0
	s_load_b128 s[4:7], s[4:5], 0x0
	s_wait_loadcnt 0x0
	s_wait_kmcnt 0x0
	v_mad_co_u64_u32 v[16:17], null, s4, v5, 0
	s_delay_alu instid0(VALU_DEP_1) | instskip(NEXT) | instid1(VALU_DEP_1)
	v_dual_mov_b32 v3, v0 :: v_dual_mov_b32 v2, v17
	v_mad_co_u64_u32 v[0:1], null, s6, v3, 0
	s_delay_alu instid0(VALU_DEP_1) | instskip(NEXT) | instid1(VALU_DEP_1)
	v_mad_co_u64_u32 v[3:4], null, s7, v3, v[1:2]
	v_mad_co_u64_u32 v[4:5], null, s5, v5, v[2:3]
	v_mov_b32_e32 v1, v3
	s_mul_u64 s[4:5], s[4:5], 0x7e0
	s_delay_alu instid0(VALU_DEP_1) | instskip(NEXT) | instid1(VALU_DEP_3)
	v_lshlrev_b64_e32 v[18:19], 4, v[0:1]
	v_mov_b32_e32 v17, v4
	s_clause 0x3
	global_load_b128 v[0:3], v255, s[8:9]
	global_load_b128 v[4:7], v255, s[8:9] offset:2016
	global_load_b128 v[8:11], v255, s[8:9] offset:4032
	;; [unrolled: 1-line block ×3, first 2 shown]
	v_add_co_u32 v26, s2, s10, v18
	v_lshlrev_b64_e32 v[24:25], 4, v[16:17]
	v_add_co_ci_u32_e64 v27, s2, s11, v19, s2
	s_clause 0x1
	global_load_b128 v[16:19], v255, s[8:9] offset:8064
	global_load_b128 v[20:23], v255, s[8:9] offset:10080
	v_add_co_u32 v40, s2, v26, v24
	s_wait_alu 0xf1ff
	v_add_co_ci_u32_e64 v41, s2, v27, v25, s2
	s_clause 0x1
	global_load_b128 v[24:27], v255, s[8:9] offset:12096
	global_load_b128 v[28:31], v255, s[8:9] offset:14112
	s_wait_alu 0xfffe
	v_add_co_u32 v44, s2, v40, s4
	s_wait_alu 0xf1ff
	v_add_co_ci_u32_e64 v45, s2, s5, v41, s2
	s_clause 0x1
	global_load_b128 v[32:35], v255, s[8:9] offset:16128
	global_load_b128 v[36:39], v255, s[8:9] offset:18144
	v_add_co_u32 v48, s2, v44, s4
	s_wait_alu 0xf1ff
	v_add_co_ci_u32_e64 v49, s2, s5, v45, s2
	s_clause 0x1
	global_load_b128 v[40:43], v[40:41], off
	global_load_b128 v[44:47], v[44:45], off
	v_add_co_u32 v52, s2, v48, s4
	s_wait_alu 0xf1ff
	v_add_co_ci_u32_e64 v53, s2, s5, v49, s2
	s_delay_alu instid0(VALU_DEP_2) | instskip(SKIP_1) | instid1(VALU_DEP_2)
	v_add_co_u32 v56, s2, v52, s4
	s_wait_alu 0xf1ff
	v_add_co_ci_u32_e64 v57, s2, s5, v53, s2
	s_clause 0x1
	global_load_b128 v[48:51], v[48:49], off
	global_load_b128 v[52:55], v[52:53], off
	v_add_co_u32 v60, s2, v56, s4
	s_wait_alu 0xf1ff
	v_add_co_ci_u32_e64 v61, s2, s5, v57, s2
	global_load_b128 v[56:59], v[56:57], off
	v_add_co_u32 v64, s2, v60, s4
	s_wait_alu 0xf1ff
	v_add_co_ci_u32_e64 v65, s2, s5, v61, s2
	global_load_b128 v[60:63], v[60:61], off
	v_add_co_u32 v68, s2, v64, s4
	s_wait_alu 0xf1ff
	v_add_co_ci_u32_e64 v69, s2, s5, v65, s2
	global_load_b128 v[64:67], v[64:65], off
	v_add_co_u32 v72, s2, v68, s4
	s_wait_alu 0xf1ff
	v_add_co_ci_u32_e64 v73, s2, s5, v69, s2
	global_load_b128 v[68:71], v[68:69], off
	v_add_co_u32 v76, s2, v72, s4
	s_wait_alu 0xf1ff
	v_add_co_ci_u32_e64 v77, s2, s5, v73, s2
	global_load_b128 v[72:75], v[72:73], off
	v_add_co_u32 v80, s2, v76, s4
	s_wait_alu 0xf1ff
	v_add_co_ci_u32_e64 v81, s2, s5, v77, s2
	global_load_b128 v[76:79], v[76:77], off
	v_add_co_u32 v92, s2, v80, s4
	s_wait_alu 0xf1ff
	v_add_co_ci_u32_e64 v93, s2, s5, v81, s2
	global_load_b128 v[80:83], v[80:81], off
	v_add_co_u32 v100, s2, v92, s4
	s_wait_alu 0xf1ff
	v_add_co_ci_u32_e64 v101, s2, s5, v93, s2
	s_clause 0x1
	global_load_b128 v[84:87], v255, s[8:9] offset:20160
	global_load_b128 v[88:91], v255, s[8:9] offset:22176
	global_load_b128 v[92:95], v[92:93], off
	global_load_b128 v[96:99], v255, s[8:9] offset:24192
	global_load_b128 v[100:103], v[100:101], off
	s_wait_loadcnt 0xf
	v_mul_f64_e32 v[104:105], v[42:43], v[2:3]
	v_mul_f64_e32 v[2:3], v[40:41], v[2:3]
	s_wait_loadcnt 0xe
	v_mul_f64_e32 v[106:107], v[46:47], v[6:7]
	v_mul_f64_e32 v[6:7], v[44:45], v[6:7]
	;; [unrolled: 3-line block ×10, first 2 shown]
	v_fma_f64 v[38:39], v[40:41], v[0:1], v[104:105]
	v_fma_f64 v[40:41], v[42:43], v[0:1], -v[2:3]
	v_fma_f64 v[0:1], v[44:45], v[4:5], v[106:107]
	v_fma_f64 v[2:3], v[46:47], v[4:5], -v[6:7]
	s_wait_loadcnt 0x4
	v_mul_f64_e32 v[126:127], v[82:83], v[86:87]
	v_mul_f64_e32 v[86:87], v[80:81], v[86:87]
	s_wait_loadcnt 0x2
	v_mul_f64_e32 v[128:129], v[94:95], v[90:91]
	v_mul_f64_e32 v[90:91], v[92:93], v[90:91]
	;; [unrolled: 3-line block ×3, first 2 shown]
	v_fma_f64 v[4:5], v[48:49], v[8:9], v[108:109]
	v_fma_f64 v[6:7], v[50:51], v[8:9], -v[10:11]
	v_fma_f64 v[8:9], v[52:53], v[12:13], v[110:111]
	v_fma_f64 v[10:11], v[54:55], v[12:13], -v[14:15]
	;; [unrolled: 2-line block ×11, first 2 shown]
	ds_store_b128 v255, v[38:41]
	ds_store_b128 v255, v[0:3] offset:2016
	ds_store_b128 v255, v[4:7] offset:4032
	;; [unrolled: 1-line block ×12, first 2 shown]
.LBB0_3:
	s_or_b32 exec_lo, exec_lo, s3
	global_wb scope:SCOPE_SE
	s_wait_storecnt_dscnt 0x0
	s_wait_kmcnt 0x0
	s_barrier_signal -1
	s_barrier_wait -1
	global_inv scope:SCOPE_SE
                                        ; implicit-def: $vgpr12_vgpr13
                                        ; implicit-def: $vgpr24_vgpr25
                                        ; implicit-def: $vgpr32_vgpr33
                                        ; implicit-def: $vgpr36_vgpr37
                                        ; implicit-def: $vgpr48_vgpr49
                                        ; implicit-def: $vgpr44_vgpr45
                                        ; implicit-def: $vgpr40_vgpr41
                                        ; implicit-def: $vgpr28_vgpr29
                                        ; implicit-def: $vgpr20_vgpr21
                                        ; implicit-def: $vgpr16_vgpr17
                                        ; implicit-def: $vgpr8_vgpr9
                                        ; implicit-def: $vgpr4_vgpr5
                                        ; implicit-def: $vgpr0_vgpr1
	s_and_saveexec_b32 s2, vcc_lo
	s_cbranch_execz .LBB0_5
; %bb.4:
	ds_load_b128 v[12:15], v255
	ds_load_b128 v[24:27], v255 offset:2016
	ds_load_b128 v[32:35], v255 offset:4032
	;; [unrolled: 1-line block ×12, first 2 shown]
.LBB0_5:
	s_wait_alu 0xfffe
	s_or_b32 exec_lo, exec_lo, s2
	s_wait_dscnt 0x0
	v_add_f64_e64 v[66:67], v[26:27], -v[2:3]
	v_add_f64_e64 v[62:63], v[24:25], -v[0:1]
	s_mov_b32 s16, 0x4267c47c
	s_mov_b32 s17, 0xbfddbe06
	v_add_f64_e32 v[60:61], v[24:25], v[0:1]
	v_add_f64_e32 v[64:65], v[26:27], v[2:3]
	v_add_f64_e64 v[70:71], v[34:35], -v[6:7]
	v_add_f64_e64 v[68:69], v[32:33], -v[4:5]
	s_mov_b32 s6, 0xe00740e9
	s_mov_b32 s4, 0x42a4c3d2
	;; [unrolled: 1-line block ×6, first 2 shown]
	v_add_f64_e64 v[80:81], v[38:39], -v[10:11]
	v_add_f64_e64 v[78:79], v[36:37], -v[8:9]
	v_add_f64_e32 v[76:77], v[32:33], v[4:5]
	v_add_f64_e32 v[82:83], v[34:35], v[6:7]
	s_mov_b32 s22, 0x1ea71119
	s_mov_b32 s20, 0x2ef20147
	s_mov_b32 s18, 0xebaa3ed8
	s_mov_b32 s34, 0x4bc48dbf
	s_mov_b32 s23, 0x3fe22d96
	s_mov_b32 s21, 0xbfedeba7
	s_mov_b32 s19, 0x3fbedb7d
	s_mov_b32 s35, 0xbfcea1e5
	v_add_f64_e32 v[122:123], v[36:37], v[8:9]
	v_add_f64_e32 v[128:129], v[38:39], v[10:11]
	v_add_f64_e64 v[88:89], v[48:49], -v[16:17]
	v_add_f64_e64 v[114:115], v[50:51], -v[18:19]
	s_mov_b32 s24, 0xb2365da1
	s_mov_b32 s28, 0x93053d00
	;; [unrolled: 1-line block ×8, first 2 shown]
	v_mul_f64_e32 v[52:53], s[16:17], v[66:67]
	v_mul_f64_e32 v[54:55], s[16:17], v[62:63]
	s_wait_alu 0xfffe
	v_mul_f64_e32 v[56:57], s[4:5], v[66:67]
	v_mul_f64_e32 v[58:59], s[4:5], v[62:63]
	;; [unrolled: 1-line block ×10, first 2 shown]
	v_add_f64_e32 v[108:109], v[48:49], v[16:17]
	v_add_f64_e32 v[132:133], v[50:51], v[18:19]
	v_mul_f64_e32 v[72:73], s[2:3], v[80:81]
	v_mul_f64_e32 v[106:107], s[2:3], v[78:79]
	v_add_f64_e64 v[90:91], v[44:45], -v[20:21]
	v_add_f64_e64 v[118:119], v[46:47], -v[22:23]
	v_mul_f64_e32 v[134:135], s[34:35], v[80:81]
	v_mul_f64_e32 v[136:137], s[34:35], v[78:79]
	;; [unrolled: 1-line block ×6, first 2 shown]
	s_mov_b32 s36, 0xd0032e0c
	s_mov_b32 s41, 0x3fe5384d
	;; [unrolled: 1-line block ×4, first 2 shown]
	v_mul_f64_e32 v[116:117], s[20:21], v[88:89]
	v_mul_f64_e32 v[110:111], s[20:21], v[114:115]
	s_mov_b32 s43, 0x3fddbe06
	s_mov_b32 s40, s38
	;; [unrolled: 1-line block ×4, first 2 shown]
	v_mul_f64_e32 v[213:214], s[20:21], v[62:63]
	v_mul_f64_e32 v[239:240], s[38:39], v[62:63]
	v_add_f64_e32 v[152:153], v[44:45], v[20:21]
	v_add_f64_e32 v[182:183], v[46:47], v[22:23]
	s_clause 0x3
	scratch_store_b64 off, v[52:53], off offset:12
	scratch_store_b64 off, v[54:55], off offset:32
	;; [unrolled: 1-line block ×4, first 2 shown]
	v_fma_f64 v[52:53], v[60:61], s[6:7], v[52:53]
	v_fma_f64 v[54:55], v[64:65], s[6:7], -v[54:55]
	v_fma_f64 v[56:57], v[60:61], s[22:23], v[56:57]
	v_fma_f64 v[58:59], v[64:65], s[22:23], -v[58:59]
	v_fma_f64 v[92:93], v[60:61], s[18:19], v[146:147]
	v_fma_f64 v[94:95], v[76:77], s[22:23], v[112:113]
	v_fma_f64 v[96:97], v[64:65], s[18:19], -v[148:149]
	v_fma_f64 v[98:99], v[82:83], s[22:23], -v[120:121]
	v_fma_f64 v[102:103], v[76:77], s[24:25], v[124:125]
	v_fma_f64 v[154:155], v[82:83], s[24:25], -v[126:127]
	v_fma_f64 v[100:101], v[122:123], s[18:19], v[72:73]
	v_fma_f64 v[158:159], v[76:77], s[28:29], v[130:131]
	v_fma_f64 v[162:163], v[82:83], s[28:29], -v[138:139]
	v_fma_f64 v[164:165], v[128:129], s[18:19], -v[106:107]
	v_add_f64_e64 v[144:145], v[40:41], -v[28:29]
	v_add_f64_e64 v[160:161], v[42:43], -v[30:31]
	v_mul_f64_e32 v[150:151], s[38:39], v[118:119]
	v_mul_f64_e32 v[156:157], s[38:39], v[90:91]
	v_mul_f64_e32 v[176:177], s[40:41], v[114:115]
	v_mul_f64_e32 v[180:181], s[40:41], v[88:89]
	v_mul_f64_e32 v[188:189], s[42:43], v[114:115]
	v_mul_f64_e32 v[190:191], s[42:43], v[88:89]
	v_fma_f64 v[170:171], v[122:123], s[24:25], v[140:141]
	v_fma_f64 v[174:175], v[128:129], s[24:25], -v[142:143]
	v_fma_f64 v[178:179], v[132:133], s[24:25], -v[116:117]
	v_mul_f64_e32 v[223:224], s[40:41], v[70:71]
	v_mul_f64_e32 v[231:232], s[30:31], v[70:71]
	v_fma_f64 v[192:193], v[60:61], s[36:37], v[237:238]
	v_mul_f64_e32 v[233:234], s[30:31], v[68:69]
	v_add_f64_e32 v[184:185], v[42:43], v[30:31]
	v_fma_f64 v[186:187], v[64:65], s[24:25], -v[213:214]
	v_fma_f64 v[194:195], v[64:65], s[36:37], -v[239:240]
	v_mul_f64_e32 v[168:169], s[4:5], v[118:119]
	v_mul_f64_e32 v[172:173], s[4:5], v[90:91]
	;; [unrolled: 1-line block ×4, first 2 shown]
	s_mov_b32 s47, 0x3fcea1e5
	s_mov_b32 s46, s34
	v_add_f64_e32 v[52:53], v[12:13], v[52:53]
	v_add_f64_e32 v[54:55], v[14:15], v[54:55]
	v_add_f64_e32 v[56:57], v[12:13], v[56:57]
	v_add_f64_e32 v[58:59], v[14:15], v[58:59]
	v_add_f64_e32 v[92:93], v[12:13], v[92:93]
	v_mul_f64_e32 v[235:236], s[4:5], v[78:79]
	v_add_f64_e32 v[96:97], v[14:15], v[96:97]
	v_mul_f64_e32 v[207:208], s[2:3], v[114:115]
	v_mul_f64_e32 v[215:216], s[46:47], v[114:115]
	scratch_store_b64 off, v[72:73], off offset:56 ; 8-byte Folded Spill
	v_mul_f64_e32 v[229:230], s[46:47], v[88:89]
	s_mov_b32 s45, 0x3fea55e2
	s_mov_b32 s44, s4
	s_clause 0x1
	s_load_b64 s[14:15], s[0:1], 0x20
	s_load_b64 s[10:11], s[0:1], 0x8
	v_mul_f64_e32 v[225:226], s[40:41], v[68:69]
	v_mul_f64_e32 v[166:167], s[30:31], v[90:91]
	v_fma_f64 v[196:197], v[152:153], s[36:37], v[150:151]
	v_fma_f64 v[202:203], v[182:183], s[36:37], -v[156:157]
	v_fma_f64 v[198:199], v[108:109], s[36:37], v[176:177]
	v_mul_f64_e32 v[221:222], s[42:43], v[78:79]
	v_mul_f64_e32 v[209:210], s[2:3], v[88:89]
	v_fma_f64 v[200:201], v[132:133], s[6:7], -v[190:191]
	v_fma_f64 v[241:242], v[76:77], s[18:19], v[231:232]
	v_add_f64_e32 v[192:193], v[12:13], v[192:193]
	v_fma_f64 v[243:244], v[82:83], s[18:19], -v[233:234]
	v_add_f64_e32 v[219:220], v[14:15], v[186:187]
	v_add_f64_e32 v[194:195], v[14:15], v[194:195]
	v_mul_f64_e32 v[186:187], s[38:39], v[144:145]
	v_fma_f64 v[253:254], v[122:123], s[22:23], v[227:228]
	v_add_f64_e32 v[52:53], v[94:95], v[52:53]
	v_add_f64_e32 v[54:55], v[98:99], v[54:55]
	v_fma_f64 v[94:95], v[108:109], s[24:25], v[110:111]
	v_fma_f64 v[98:99], v[122:123], s[28:29], v[134:135]
	v_add_f64_e32 v[56:57], v[102:103], v[56:57]
	v_fma_f64 v[102:103], v[128:129], s[28:29], -v[136:137]
	v_add_f64_e32 v[58:59], v[154:155], v[58:59]
	v_add_f64_e32 v[92:93], v[158:159], v[92:93]
	v_add_f64_e32 v[96:97], v[162:163], v[96:97]
	v_add_f64_e32 v[162:163], v[40:41], v[28:29]
	v_mul_f64_e32 v[154:155], s[34:35], v[160:161]
	v_mul_f64_e32 v[158:159], s[34:35], v[144:145]
	v_fma_f64 v[86:87], v[108:109], s[28:29], v[215:216]
	v_fma_f64 v[104:105], v[132:133], s[28:29], -v[229:230]
	v_fma_f64 v[211:212], v[82:83], s[36:37], -v[225:226]
	;; [unrolled: 1-line block ×4, first 2 shown]
	v_add_f64_e32 v[192:193], v[241:242], v[192:193]
	v_fma_f64 v[241:242], v[128:129], s[22:23], -v[235:236]
	v_add_f64_e32 v[243:244], v[243:244], v[194:195]
	v_fma_f64 v[84:85], v[184:185], s[36:37], -v[186:187]
	v_add_f64_e32 v[52:53], v[100:101], v[52:53]
	v_add_f64_e32 v[54:55], v[164:165], v[54:55]
	v_fma_f64 v[100:101], v[60:61], s[24:25], v[205:206]
	v_mul_f64_e32 v[164:165], s[30:31], v[118:119]
	v_add_f64_e32 v[56:57], v[98:99], v[56:57]
	v_fma_f64 v[98:99], v[132:133], s[36:37], -v[180:181]
	v_add_f64_e32 v[58:59], v[102:103], v[58:59]
	v_fma_f64 v[102:103], v[108:109], s[6:7], v[188:189]
	v_add_f64_e32 v[92:93], v[170:171], v[92:93]
	v_add_f64_e32 v[96:97], v[174:175], v[96:97]
	v_mul_f64_e32 v[170:171], s[42:43], v[160:161]
	v_fma_f64 v[245:246], v[162:163], s[28:29], v[154:155]
	v_mul_f64_e32 v[174:175], s[42:43], v[144:145]
	v_add_f64_e32 v[211:212], v[211:212], v[219:220]
	v_mul_f64_e32 v[219:220], s[42:43], v[90:91]
	v_add_f64_e32 v[253:254], v[253:254], v[192:193]
	;; [unrolled: 2-line block ×3, first 2 shown]
	v_add_f64_e32 v[52:53], v[94:95], v[52:53]
	v_add_f64_e32 v[54:55], v[178:179], v[54:55]
	v_fma_f64 v[94:95], v[76:77], s[36:37], v[223:224]
	v_add_f64_e32 v[100:101], v[12:13], v[100:101]
	v_mul_f64_e32 v[178:179], s[38:39], v[160:161]
	v_fma_f64 v[247:248], v[152:153], s[18:19], v[164:165]
	v_add_f64_e32 v[56:57], v[198:199], v[56:57]
	v_add_f64_e32 v[58:59], v[98:99], v[58:59]
	v_fma_f64 v[98:99], v[152:153], s[22:23], v[168:169]
	v_add_f64_e32 v[92:93], v[102:103], v[92:93]
	v_fma_f64 v[102:103], v[182:183], s[22:23], -v[172:173]
	v_add_f64_e32 v[96:97], v[200:201], v[96:97]
	v_fma_f64 v[199:200], v[184:185], s[28:29], -v[158:159]
	v_add_f64_e32 v[251:252], v[251:252], v[211:212]
	v_mul_f64_e32 v[211:212], s[20:21], v[144:145]
	v_add_f64_e32 v[52:53], v[196:197], v[52:53]
	v_add_f64_e32 v[54:55], v[202:203], v[54:55]
	v_fma_f64 v[203:204], v[122:123], s[6:7], v[217:218]
	v_add_f64_e32 v[94:95], v[94:95], v[100:101]
	v_mul_f64_e32 v[195:196], s[46:47], v[118:119]
	v_mul_f64_e32 v[201:202], s[42:43], v[118:119]
	v_add_f64_e32 v[56:57], v[247:248], v[56:57]
	v_fma_f64 v[247:248], v[162:163], s[6:7], v[170:171]
	v_fma_f64 v[72:73], v[162:163], s[36:37], v[178:179]
	v_add_f64_e32 v[92:93], v[98:99], v[92:93]
	v_mul_f64_e32 v[197:198], s[46:47], v[90:91]
	v_add_f64_e32 v[74:75], v[102:103], v[96:97]
	v_add_f64_e32 v[58:59], v[249:250], v[58:59]
	v_fma_f64 v[249:250], v[184:185], s[6:7], -v[174:175]
	v_add_f64_e32 v[100:101], v[245:246], v[52:53]
	v_add_f64_e32 v[102:103], v[199:200], v[54:55]
	v_fma_f64 v[52:53], v[108:109], s[18:19], v[207:208]
	v_add_f64_e32 v[54:55], v[203:204], v[94:95]
	v_mul_f64_e32 v[203:204], s[20:21], v[160:161]
	v_fma_f64 v[245:246], v[132:133], s[18:19], -v[209:210]
	v_mul_f64_e32 v[199:200], s[44:45], v[144:145]
	v_add_f64_e32 v[96:97], v[247:248], v[56:57]
	v_fma_f64 v[56:57], v[152:153], s[28:29], v[195:196]
	v_add_f64_e32 v[92:93], v[72:73], v[92:93]
	v_fma_f64 v[72:73], v[152:153], s[6:7], v[201:202]
	v_add_f64_e32 v[94:95], v[84:85], v[74:75]
	v_add_f64_e32 v[74:75], v[86:87], v[253:254]
	;; [unrolled: 1-line block ×3, first 2 shown]
	v_fma_f64 v[104:105], v[162:163], s[22:23], v[193:194]
	v_add_f64_e32 v[98:99], v[249:250], v[58:59]
	v_fma_f64 v[84:85], v[182:183], s[6:7], -v[219:220]
	v_add_f64_e32 v[52:53], v[52:53], v[54:55]
	v_fma_f64 v[243:244], v[162:163], s[24:25], v[203:204]
	v_fma_f64 v[54:55], v[182:183], s[28:29], -v[197:198]
	v_add_f64_e32 v[58:59], v[245:246], v[251:252]
	v_fma_f64 v[241:242], v[184:185], s[22:23], -v[199:200]
	v_add_f64_e32 v[72:73], v[72:73], v[74:75]
	;; [unrolled: 2-line block ×3, first 2 shown]
	v_add_f64_e32 v[52:53], v[56:57], v[52:53]
	v_add_f64_e32 v[54:55], v[54:55], v[58:59]
	s_delay_alu instid0(VALU_DEP_2)
	v_add_f64_e32 v[56:57], v[104:105], v[52:53]
	v_add_f64_e32 v[52:53], v[243:244], v[72:73]
	scratch_load_b32 v72, off, off          ; 4-byte Folded Reload
	v_add_f64_e32 v[58:59], v[241:242], v[54:55]
	v_add_f64_e32 v[54:55], v[74:75], v[84:85]
	s_wait_loadcnt 0x0
	v_mul_lo_u16 v72, v72, 13
	scratch_store_b32 off, v72, off offset:28 ; 4-byte Folded Spill
	global_wb scope:SCOPE_SE
	s_wait_storecnt 0x0
	s_wait_kmcnt 0x0
	s_barrier_signal -1
	s_barrier_wait -1
	global_inv scope:SCOPE_SE
	s_and_saveexec_b32 s0, vcc_lo
	s_cbranch_execz .LBB0_7
; %bb.6:
	v_add_f64_e32 v[26:27], v[14:15], v[26:27]
	v_mul_f64_e32 v[72:73], s[18:19], v[60:61]
	v_mul_f64_e32 v[84:85], s[22:23], v[60:61]
	;; [unrolled: 1-line block ×3, first 2 shown]
	v_add_f64_e32 v[24:25], v[12:13], v[24:25]
	v_mul_f64_e32 v[74:75], s[22:23], v[64:65]
	v_mul_f64_e32 v[70:71], s[42:43], v[70:71]
	;; [unrolled: 1-line block ×5, first 2 shown]
	scratch_load_b64 v[249:250], off, off offset:56 th:TH_LOAD_LU ; 8-byte Folded Reload
	v_mul_f64_e32 v[241:242], s[18:19], v[122:123]
	v_mul_f64_e32 v[243:244], s[24:25], v[122:123]
	;; [unrolled: 1-line block ×4, first 2 shown]
	v_add_f64_e32 v[26:27], v[26:27], v[34:35]
	v_mul_f64_e32 v[34:35], s[34:35], v[66:67]
	v_mul_f64_e32 v[66:67], s[18:19], v[64:65]
	v_add_f64_e32 v[24:25], v[24:25], v[32:33]
	v_mul_f64_e32 v[32:33], s[28:29], v[64:65]
	v_add_f64_e64 v[104:105], v[104:105], -v[124:125]
	v_mul_f64_e32 v[124:125], s[6:7], v[132:133]
	v_add_f64_e32 v[235:236], v[235:236], v[247:248]
	v_mul_f64_e32 v[247:248], s[28:29], v[132:133]
	v_add_f64_e64 v[140:141], v[243:244], -v[140:141]
	v_add_f64_e64 v[227:228], v[245:246], -v[227:228]
	v_mul_f64_e32 v[243:244], s[22:23], v[152:153]
	v_mul_f64_e32 v[245:246], s[36:37], v[152:153]
	v_add_f64_e32 v[26:27], v[26:27], v[38:39]
	v_mul_f64_e32 v[38:39], s[36:37], v[60:61]
	v_add_f64_e32 v[24:25], v[24:25], v[36:37]
	;; [unrolled: 2-line block ×3, first 2 shown]
	v_add_f64_e32 v[26:27], v[26:27], v[50:51]
	v_mul_f64_e32 v[50:51], s[24:25], v[60:61]
	v_add_f64_e64 v[38:39], v[38:39], -v[237:238]
	v_mul_f64_e32 v[237:238], s[28:29], v[82:83]
	v_add_f64_e32 v[24:25], v[24:25], v[48:49]
	v_mul_f64_e32 v[48:49], s[24:25], v[64:65]
	v_mul_f64_e32 v[64:65], s[6:7], v[64:65]
	v_add_f64_e32 v[36:37], v[239:240], v[36:37]
	v_mul_f64_e32 v[239:240], s[36:37], v[76:77]
	v_add_f64_e32 v[26:27], v[26:27], v[46:47]
	v_fma_f64 v[46:47], v[60:61], s[28:29], v[34:35]
	v_fma_f64 v[34:35], v[60:61], s[28:29], -v[34:35]
	v_add_f64_e32 v[60:61], v[148:149], v[66:67]
	scratch_load_b64 v[66:67], off, off offset:48 th:TH_LOAD_LU ; 8-byte Folded Reload
	v_add_f64_e32 v[24:25], v[24:25], v[44:45]
	v_fma_f64 v[44:45], v[62:63], s[46:47], v[32:33]
	v_fma_f64 v[32:33], v[62:63], s[34:35], v[32:33]
	v_add_f64_e64 v[62:63], v[72:73], -v[146:147]
	scratch_load_b64 v[72:73], off, off offset:40 th:TH_LOAD_LU ; 8-byte Folded Reload
	v_add_f64_e32 v[48:49], v[213:214], v[48:49]
	v_add_f64_e64 v[50:51], v[50:51], -v[205:206]
	v_mul_f64_e32 v[146:147], s[18:19], v[82:83]
	v_mul_f64_e32 v[148:149], s[24:25], v[82:83]
	v_add_f64_e32 v[36:37], v[14:15], v[36:37]
	v_add_f64_e32 v[38:39], v[12:13], v[38:39]
	;; [unrolled: 1-line block ×3, first 2 shown]
	v_mul_f64_e32 v[237:238], s[36:37], v[132:133]
	v_mul_f64_e32 v[205:206], s[28:29], v[76:77]
	;; [unrolled: 1-line block ×3, first 2 shown]
	v_add_f64_e64 v[223:224], v[239:240], -v[223:224]
	v_mul_f64_e32 v[239:240], s[36:37], v[108:109]
	v_add_f64_e32 v[26:27], v[26:27], v[42:43]
	v_mul_f64_e32 v[42:43], s[6:7], v[82:83]
	v_add_f64_e32 v[46:47], v[12:13], v[46:47]
	v_add_f64_e32 v[34:35], v[12:13], v[34:35]
	;; [unrolled: 1-line block ×4, first 2 shown]
	v_mul_f64_e32 v[40:41], s[36:37], v[128:129]
	v_add_f64_e32 v[32:33], v[14:15], v[32:33]
	v_add_f64_e32 v[44:45], v[14:15], v[44:45]
	;; [unrolled: 1-line block ×6, first 2 shown]
	v_mul_f64_e32 v[233:234], s[28:29], v[122:123]
	v_add_f64_e32 v[126:127], v[126:127], v[148:149]
	v_mul_f64_e32 v[148:149], s[6:7], v[108:109]
	v_add_f64_e64 v[130:131], v[205:206], -v[130:131]
	v_add_f64_e64 v[213:214], v[213:214], -v[231:232]
	v_mul_f64_e32 v[205:206], s[18:19], v[108:109]
	v_mul_f64_e32 v[231:232], s[24:25], v[108:109]
	v_add_f64_e32 v[26:27], v[26:27], v[30:31]
	v_add_f64_e32 v[24:25], v[24:25], v[28:29]
	v_fma_f64 v[30:31], v[78:79], s[40:41], v[40:41]
	v_fma_f64 v[40:41], v[78:79], s[38:39], v[40:41]
	;; [unrolled: 1-line block ×4, first 2 shown]
	v_mul_f64_e32 v[28:29], s[6:7], v[122:123]
	v_fma_f64 v[68:69], v[76:77], s[6:7], v[70:71]
	v_fma_f64 v[70:71], v[76:77], s[6:7], -v[70:71]
	v_add_f64_e64 v[134:135], v[233:234], -v[134:135]
	v_add_f64_e32 v[36:37], v[146:147], v[36:37]
	v_add_f64_e32 v[50:51], v[223:224], v[50:51]
	v_mul_f64_e32 v[233:234], s[28:29], v[152:153]
	v_add_f64_e32 v[62:63], v[130:131], v[62:63]
	v_add_f64_e32 v[38:39], v[213:214], v[38:39]
	;; [unrolled: 1-line block ×3, first 2 shown]
	v_add_f64_e64 v[110:111], v[231:232], -v[110:111]
	v_add_f64_e32 v[22:23], v[26:27], v[22:23]
	v_mul_f64_e32 v[26:27], s[6:7], v[182:183]
	v_add_f64_e32 v[20:21], v[24:25], v[20:21]
	v_mul_f64_e32 v[24:25], s[6:7], v[152:153]
	v_add_f64_e32 v[44:45], v[78:79], v[44:45]
	v_add_f64_e32 v[32:33], v[42:43], v[32:33]
	v_add_f64_e64 v[28:29], v[28:29], -v[217:218]
	v_add_f64_e32 v[46:47], v[68:69], v[46:47]
	v_add_f64_e32 v[34:35], v[70:71], v[34:35]
	v_mul_f64_e32 v[217:218], s[18:19], v[152:153]
	v_add_f64_e32 v[36:37], v[235:236], v[36:37]
	v_mul_f64_e32 v[78:79], s[6:7], v[184:185]
	v_mul_f64_e32 v[68:69], s[28:29], v[162:163]
	;; [unrolled: 1-line block ×3, first 2 shown]
	v_add_f64_e32 v[38:39], v[227:228], v[38:39]
	v_add_f64_e32 v[18:19], v[22:23], v[18:19]
	;; [unrolled: 1-line block ×3, first 2 shown]
	v_mul_f64_e32 v[22:23], s[36:37], v[184:185]
	v_add_f64_e32 v[16:17], v[20:21], v[16:17]
	v_mul_f64_e32 v[20:21], s[36:37], v[162:163]
	v_add_f64_e64 v[24:25], v[24:25], -v[201:202]
	v_add_f64_e32 v[30:31], v[30:31], v[44:45]
	v_add_f64_e32 v[32:33], v[40:41], v[32:33]
	;; [unrolled: 1-line block ×3, first 2 shown]
	v_mul_f64_e32 v[50:51], s[22:23], v[162:163]
	v_add_f64_e32 v[78:79], v[174:175], v[78:79]
	v_add_f64_e64 v[68:69], v[68:69], -v[154:155]
	v_add_f64_e32 v[70:71], v[158:159], v[70:71]
	v_add_f64_e32 v[10:11], v[18:19], v[10:11]
	;; [unrolled: 1-line block ×4, first 2 shown]
	v_add_f64_e64 v[20:21], v[20:21], -v[178:179]
	v_add_f64_e64 v[50:51], v[50:51], -v[193:194]
	s_wait_loadcnt 0x1
	v_add_f64_e32 v[66:67], v[66:67], v[74:75]
	scratch_load_b64 v[74:75], off, off offset:32 th:TH_LOAD_LU ; 8-byte Folded Reload
	v_add_f64_e32 v[66:67], v[14:15], v[66:67]
	s_wait_loadcnt 0x0
	v_add_f64_e32 v[64:65], v[74:75], v[64:65]
	scratch_load_b64 v[74:75], off, off offset:12 th:TH_LOAD_LU ; 8-byte Folded Reload
	v_add_f64_e64 v[72:73], v[84:85], -v[72:73]
	v_mul_f64_e32 v[84:85], s[22:23], v[76:77]
	v_mul_f64_e32 v[76:77], s[28:29], v[128:129]
	v_add_f64_e32 v[14:15], v[14:15], v[64:65]
	v_mul_f64_e32 v[64:65], s[24:25], v[128:129]
	v_add_f64_e32 v[72:73], v[12:13], v[72:73]
	v_add_f64_e64 v[84:85], v[84:85], -v[112:113]
	v_add_f64_e32 v[76:77], v[136:137], v[76:77]
	v_mul_f64_e32 v[112:113], s[28:29], v[108:109]
	v_mul_f64_e32 v[136:137], s[22:23], v[182:183]
	v_add_f64_e32 v[64:65], v[142:143], v[64:65]
	v_mul_f64_e32 v[142:143], s[18:19], v[182:183]
	s_delay_alu instid0(VALU_DEP_4) | instskip(NEXT) | instid1(VALU_DEP_1)
	v_add_f64_e64 v[112:113], v[112:113], -v[215:216]
	v_add_f64_e32 v[38:39], v[112:113], v[38:39]
	s_delay_alu instid0(VALU_DEP_1) | instskip(SKIP_4) | instid1(VALU_DEP_3)
	v_add_f64_e32 v[38:39], v[24:25], v[38:39]
	s_wait_loadcnt 0x0
	v_add_f64_e64 v[74:75], v[86:87], -v[74:75]
	v_mul_f64_e32 v[86:87], s[22:23], v[82:83]
	v_mul_f64_e32 v[82:83], s[36:37], v[82:83]
	v_add_f64_e32 v[12:13], v[12:13], v[74:75]
	v_mul_f64_e32 v[74:75], s[6:7], v[128:129]
	s_delay_alu instid0(VALU_DEP_3)
	v_add_f64_e32 v[82:83], v[225:226], v[82:83]
	v_mul_f64_e32 v[225:226], s[24:25], v[132:133]
	v_add_f64_e32 v[86:87], v[120:121], v[86:87]
	v_fma_f64 v[120:121], v[122:123], s[36:37], v[80:81]
	v_fma_f64 v[80:81], v[122:123], s[36:37], -v[80:81]
	v_mul_f64_e32 v[122:123], s[18:19], v[132:133]
	v_mul_f64_e32 v[132:133], s[22:23], v[132:133]
	v_mul_f64_e32 v[128:129], s[18:19], v[128:129]
	v_add_f64_e32 v[12:13], v[84:85], v[12:13]
	v_add_f64_e32 v[74:75], v[221:222], v[74:75]
	;; [unrolled: 1-line block ×3, first 2 shown]
	v_mul_f64_e32 v[82:83], s[24:25], v[182:183]
	v_add_f64_e32 v[14:15], v[86:87], v[14:15]
	v_add_f64_e32 v[48:49], v[138:139], v[60:61]
	;; [unrolled: 1-line block ×4, first 2 shown]
	v_fma_f64 v[86:87], v[88:89], s[4:5], v[132:133]
	v_fma_f64 v[88:89], v[88:89], s[44:45], v[132:133]
	v_add_f64_e32 v[66:67], v[104:105], v[72:73]
	v_add_f64_e32 v[106:107], v[106:107], v[128:129]
	v_mul_f64_e32 v[128:129], s[28:29], v[182:183]
	v_mul_f64_e32 v[84:85], s[20:21], v[118:119]
	v_fma_f64 v[104:105], v[108:109], s[22:23], v[114:115]
	v_fma_f64 v[108:109], v[108:109], s[22:23], -v[114:115]
	v_add_f64_e32 v[114:115], v[229:230], v[247:248]
	v_add_f64_e32 v[118:119], v[209:210], v[122:123]
	v_add_f64_e64 v[132:133], v[239:240], -v[176:177]
	v_add_f64_e32 v[44:45], v[120:121], v[46:47]
	v_add_f64_e64 v[126:127], v[148:149], -v[188:189]
	v_add_f64_e64 v[122:123], v[205:206], -v[207:208]
	v_mul_f64_e32 v[221:222], s[36:37], v[182:183]
	v_add_f64_e32 v[116:117], v[116:117], v[225:226]
	v_mul_f64_e32 v[72:73], s[6:7], v[162:163]
	v_add_f64_e64 v[138:139], v[217:218], -v[164:165]
	v_add_f64_e64 v[120:121], v[233:234], -v[195:196]
	v_add_f64_e32 v[40:41], v[74:75], v[42:43]
	v_mul_f64_e32 v[74:75], s[18:19], v[184:185]
	v_fma_f64 v[80:81], v[90:91], s[26:27], v[82:83]
	v_fma_f64 v[82:83], v[90:91], s[20:21], v[82:83]
	v_add_f64_e32 v[42:43], v[64:65], v[48:49]
	v_add_f64_e32 v[46:47], v[76:77], v[60:61]
	;; [unrolled: 1-line block ×7, first 2 shown]
	v_mul_f64_e32 v[66:67], s[24:25], v[184:185]
	v_add_f64_e32 v[90:91], v[197:198], v[128:129]
	v_add_f64_e32 v[128:129], v[172:173], v[136:137]
	;; [unrolled: 1-line block ×4, first 2 shown]
	v_add_f64_e64 v[134:135], v[243:244], -v[168:169]
	v_mul_f64_e32 v[62:63], s[22:23], v[184:185]
	v_mul_f64_e32 v[76:77], s[30:31], v[160:161]
	v_fma_f64 v[106:107], v[152:153], s[24:25], v[84:85]
	v_add_f64_e32 v[44:45], v[104:105], v[44:45]
	v_add_f64_e32 v[28:29], v[122:123], v[28:29]
	v_mul_f64_e32 v[64:65], s[24:25], v[162:163]
	v_fma_f64 v[84:85], v[152:153], s[24:25], -v[84:85]
	v_add_f64_e32 v[34:35], v[108:109], v[34:35]
	v_add_f64_e32 v[140:141], v[156:157], v[221:222]
	v_add_f64_e64 v[142:143], v[245:246], -v[150:151]
	v_add_f64_e64 v[72:73], v[72:73], -v[170:171]
	v_add_f64_e32 v[40:41], v[118:119], v[40:41]
	v_fma_f64 v[16:17], v[144:145], s[2:3], v[74:75]
	v_fma_f64 v[74:75], v[144:145], s[30:31], v[74:75]
	v_add_f64_e32 v[42:43], v[124:125], v[42:43]
	v_add_f64_e32 v[46:47], v[130:131], v[46:47]
	;; [unrolled: 1-line block ×12, first 2 shown]
	v_fma_f64 v[18:19], v[162:163], s[18:19], v[76:77]
	v_fma_f64 v[76:77], v[162:163], s[18:19], -v[76:77]
	v_add_f64_e32 v[44:45], v[106:107], v[44:45]
	v_add_f64_e32 v[28:29], v[120:121], v[28:29]
	v_add_f64_e64 v[64:65], v[64:65], -v[203:204]
	v_add_f64_e32 v[34:35], v[84:85], v[34:35]
	v_add_f64_e32 v[36:37], v[90:91], v[40:41]
	;; [unrolled: 1-line block ×6, first 2 shown]
	scratch_load_b32 v32, off, off offset:28 ; 4-byte Folded Reload
	v_add_f64_e64 v[241:242], v[241:242], -v[249:250]
	v_add_f64_e32 v[46:47], v[138:139], v[48:49]
	v_add_f64_e32 v[48:49], v[134:135], v[60:61]
	;; [unrolled: 1-line block ×16, first 2 shown]
	s_delay_alu instid0(VALU_DEP_4) | instskip(NEXT) | instid1(VALU_DEP_1)
	v_add_f64_e32 v[12:13], v[110:111], v[12:13]
	v_add_f64_e32 v[84:85], v[142:143], v[12:13]
	;; [unrolled: 1-line block ×3, first 2 shown]
	s_delay_alu instid0(VALU_DEP_2) | instskip(SKIP_2) | instid1(VALU_DEP_1)
	v_add_f64_e32 v[28:29], v[68:69], v[84:85]
	s_wait_loadcnt 0x0
	v_and_b32_e32 v32, 0xffff, v32
	v_lshlrev_b32_e32 v32, 4, v32
	ds_store_b128 v32, v[52:55] offset:128
	ds_store_b128 v32, v[56:59] offset:144
	;; [unrolled: 1-line block ×10, first 2 shown]
	ds_store_b128 v32, v[0:3]
	ds_store_b128 v32, v[28:31] offset:16
	ds_store_b128 v32, v[100:103] offset:192
.LBB0_7:
	s_wait_alu 0xfffe
	s_or_b32 exec_lo, exec_lo, s0
	global_wb scope:SCOPE_SE
	s_wait_dscnt 0x0
	s_barrier_signal -1
	s_barrier_wait -1
	global_inv scope:SCOPE_SE
	ds_load_b128 v[24:27], v255
	ds_load_b128 v[28:31], v255 offset:2912
	ds_load_b128 v[40:43], v255 offset:13104
	;; [unrolled: 1-line block ×7, first 2 shown]
	scratch_load_b32 v0, off, off           ; 4-byte Folded Reload
	s_wait_loadcnt 0x0
	v_cmp_gt_u16_e64 s0, 0x5b, v0
	s_delay_alu instid0(VALU_DEP_1)
	s_and_saveexec_b32 s1, s0
	s_cbranch_execz .LBB0_9
; %bb.8:
	ds_load_b128 v[52:55], v255 offset:11648
	ds_load_b128 v[56:59], v255 offset:24752
.LBB0_9:
	s_wait_alu 0xfffe
	s_or_b32 exec_lo, exec_lo, s1
	scratch_load_b32 v16, off, off          ; 4-byte Folded Reload
	s_wait_loadcnt 0x0
	v_add_co_u32 v148, s1, 0xb6, v16
	s_wait_alu 0xf1ff
	v_add_co_ci_u32_e64 v149, null, 0, 0, s1
	v_add_co_u32 v150, s1, 0x16c, v16
	v_add_co_u32 v0, null, 0x222, v16
	v_and_b32_e32 v1, 0xff, v16
	v_and_b32_e32 v2, 0xffff, v148
	s_delay_alu instid0(VALU_DEP_4) | instskip(NEXT) | instid1(VALU_DEP_4)
	v_and_b32_e32 v3, 0xffff, v150
	v_and_b32_e32 v4, 0xffff, v0
	s_wait_alu 0xf1ff
	v_add_co_ci_u32_e64 v151, null, 0, 0, s1
	v_mul_lo_u16 v1, 0x4f, v1
	v_mul_u32_u24_e32 v61, 0x4ec5, v2
	v_mul_u32_u24_e32 v60, 0x4ec5, v3
	s_delay_alu instid0(VALU_DEP_3) | instskip(SKIP_1) | instid1(VALU_DEP_4)
	v_lshrrev_b16 v78, 10, v1
	v_mul_u32_u24_e32 v1, 0x4ec5, v4
	v_lshrrev_b32_e32 v79, 18, v61
	s_delay_alu instid0(VALU_DEP_4) | instskip(NEXT) | instid1(VALU_DEP_4)
	v_lshrrev_b32_e32 v80, 18, v60
	v_mul_lo_u16 v2, v78, 13
	s_delay_alu instid0(VALU_DEP_4) | instskip(NEXT) | instid1(VALU_DEP_4)
	v_lshrrev_b32_e32 v81, 18, v1
	v_mul_lo_u16 v1, v79, 13
	s_delay_alu instid0(VALU_DEP_4) | instskip(NEXT) | instid1(VALU_DEP_4)
	v_mul_lo_u16 v3, v80, 13
	v_sub_nc_u16 v2, v16, v2
	s_delay_alu instid0(VALU_DEP_4) | instskip(NEXT) | instid1(VALU_DEP_4)
	v_mul_lo_u16 v4, v81, 13
	v_sub_nc_u16 v82, v148, v1
	s_delay_alu instid0(VALU_DEP_4) | instskip(NEXT) | instid1(VALU_DEP_4)
	v_sub_nc_u16 v83, v150, v3
	v_and_b32_e32 v84, 0xff, v2
	s_delay_alu instid0(VALU_DEP_4) | instskip(NEXT) | instid1(VALU_DEP_4)
	v_sub_nc_u16 v85, v0, v4
	v_and_b32_e32 v0, 0xffff, v82
	s_delay_alu instid0(VALU_DEP_4) | instskip(NEXT) | instid1(VALU_DEP_4)
	v_and_b32_e32 v1, 0xffff, v83
	v_lshlrev_b32_e32 v2, 4, v84
	s_delay_alu instid0(VALU_DEP_4) | instskip(NEXT) | instid1(VALU_DEP_4)
	v_and_b32_e32 v3, 0xffff, v85
	v_lshlrev_b32_e32 v0, 4, v0
	s_delay_alu instid0(VALU_DEP_4)
	v_lshlrev_b32_e32 v1, 4, v1
	global_load_b128 v[8:11], v2, s[10:11]
	v_lshlrev_b32_e32 v2, 4, v3
	s_clause 0x1
	global_load_b128 v[12:15], v0, s[10:11]
	global_load_b128 v[4:7], v1, s[10:11]
	v_add_nc_u16 v0, v16, 0x2d8
	s_load_b128 s[4:7], s[14:15], 0x0
	global_load_b128 v[16:19], v2, s[10:11]
	v_and_b32_e32 v1, 0xffff, v0
	s_delay_alu instid0(VALU_DEP_1) | instskip(NEXT) | instid1(VALU_DEP_1)
	v_mul_u32_u24_e32 v1, 0x4ec5, v1
	v_lshrrev_b32_e32 v86, 18, v1
	s_delay_alu instid0(VALU_DEP_1) | instskip(NEXT) | instid1(VALU_DEP_1)
	v_mul_lo_u16 v1, v86, 13
	v_sub_nc_u16 v87, v0, v1
	s_delay_alu instid0(VALU_DEP_1) | instskip(NEXT) | instid1(VALU_DEP_1)
	v_and_b32_e32 v0, 0xffff, v87
	v_lshlrev_b32_e32 v0, 4, v0
	global_load_b128 v[0:3], v0, s[10:11]
	s_wait_loadcnt_dscnt 0x405
	v_mul_f64_e32 v[62:63], v[42:43], v[10:11]
	v_mul_f64_e32 v[64:65], v[40:41], v[10:11]
	s_wait_loadcnt_dscnt 0x201
	v_mul_f64_e32 v[70:71], v[50:51], v[6:7]
	v_mul_f64_e32 v[72:73], v[48:49], v[6:7]
	;; [unrolled: 1-line block ×4, first 2 shown]
	s_wait_loadcnt_dscnt 0x100
	v_mul_f64_e32 v[74:75], v[46:47], v[18:19]
	v_mul_f64_e32 v[76:77], v[44:45], v[18:19]
	v_fma_f64 v[40:41], v[40:41], v[8:9], -v[62:63]
	v_fma_f64 v[42:43], v[42:43], v[8:9], v[64:65]
	v_fma_f64 v[48:49], v[48:49], v[4:5], -v[70:71]
	v_fma_f64 v[50:51], v[50:51], v[4:5], v[72:73]
	v_fma_f64 v[62:63], v[36:37], v[12:13], -v[66:67]
	s_wait_loadcnt 0x0
	v_mul_f64_e32 v[70:71], v[58:59], v[2:3]
	v_mul_f64_e32 v[72:73], v[56:57], v[2:3]
	v_fma_f64 v[64:65], v[38:39], v[12:13], v[68:69]
	v_fma_f64 v[66:67], v[44:45], v[16:17], -v[74:75]
	v_fma_f64 v[68:69], v[46:47], v[16:17], v[76:77]
	v_add_f64_e64 v[36:37], v[24:25], -v[40:41]
	v_add_f64_e64 v[38:39], v[26:27], -v[42:43]
	;; [unrolled: 1-line block ×5, first 2 shown]
	v_fma_f64 v[56:57], v[56:57], v[0:1], -v[70:71]
	v_fma_f64 v[58:59], v[58:59], v[0:1], v[72:73]
	v_add_f64_e64 v[42:43], v[30:31], -v[64:65]
	v_add_f64_e64 v[48:49], v[20:21], -v[66:67]
	;; [unrolled: 1-line block ×3, first 2 shown]
	v_fma_f64 v[24:25], v[24:25], 2.0, -v[36:37]
	v_fma_f64 v[26:27], v[26:27], 2.0, -v[38:39]
	;; [unrolled: 1-line block ×5, first 2 shown]
	v_add_f64_e64 v[104:105], v[52:53], -v[56:57]
	v_add_f64_e64 v[106:107], v[54:55], -v[58:59]
	v_fma_f64 v[30:31], v[30:31], 2.0, -v[42:43]
	v_fma_f64 v[20:21], v[20:21], 2.0, -v[48:49]
	;; [unrolled: 1-line block ×3, first 2 shown]
	v_and_b32_e32 v56, 0xffff, v78
	v_mad_u16 v57, v79, 26, v82
	v_mad_u16 v58, v80, 26, v83
	;; [unrolled: 1-line block ×3, first 2 shown]
	s_delay_alu instid0(VALU_DEP_4) | instskip(NEXT) | instid1(VALU_DEP_1)
	v_mul_u32_u24_e32 v56, 26, v56
	v_add_lshl_u32 v62, v56, v84, 4
	v_mad_u16 v56, v86, 26, v87
	scratch_store_b32 off, v56, off offset:32 ; 4-byte Folded Spill
	v_and_b32_e32 v56, 0xffff, v57
	v_and_b32_e32 v57, 0xffff, v58
	;; [unrolled: 1-line block ×3, first 2 shown]
	global_wb scope:SCOPE_SE
	s_wait_storecnt 0x0
	s_wait_kmcnt 0x0
	s_barrier_signal -1
	v_lshlrev_b32_e32 v59, 4, v56
	v_lshlrev_b32_e32 v57, 4, v57
	;; [unrolled: 1-line block ×3, first 2 shown]
	s_barrier_wait -1
	global_inv scope:SCOPE_SE
	scratch_store_b32 off, v62, off offset:48 ; 4-byte Folded Spill
	ds_store_b128 v62, v[24:27]
	ds_store_b128 v62, v[36:39] offset:208
	ds_store_b128 v59, v[28:31]
	scratch_store_b32 off, v59, off offset:64 ; 4-byte Folded Spill
	ds_store_b128 v59, v[40:43] offset:208
	ds_store_b128 v57, v[32:35]
	scratch_store_b32 off, v57, off offset:56 ; 4-byte Folded Spill
	ds_store_b128 v57, v[44:47] offset:208
	ds_store_b128 v56, v[20:23]
	scratch_store_b32 off, v56, off offset:40 ; 4-byte Folded Spill
	ds_store_b128 v56, v[48:51] offset:208
	s_and_saveexec_b32 s1, s0
	s_cbranch_execz .LBB0_11
; %bb.10:
	scratch_load_b32 v24, off, off offset:32 ; 4-byte Folded Reload
	v_fma_f64 v[22:23], v[54:55], 2.0, -v[106:107]
	v_fma_f64 v[20:21], v[52:53], 2.0, -v[104:105]
	s_wait_loadcnt 0x0
	v_and_b32_e32 v24, 0xffff, v24
	s_delay_alu instid0(VALU_DEP_1)
	v_lshlrev_b32_e32 v24, 4, v24
	ds_store_b128 v24, v[20:23]
	ds_store_b128 v24, v[104:107] offset:208
.LBB0_11:
	s_wait_alu 0xfffe
	s_or_b32 exec_lo, exec_lo, s1
	scratch_load_b32 v144, off, off         ; 4-byte Folded Reload
	v_lshrrev_b32_e32 v128, 19, v61
	v_lshrrev_b32_e32 v129, 19, v60
	global_wb scope:SCOPE_SE
	s_wait_storecnt 0x0
	s_wait_loadcnt_dscnt 0x0
	s_barrier_signal -1
	s_barrier_wait -1
	v_mul_lo_u16 v21, v128, 26
	global_inv scope:SCOPE_SE
	s_mov_b32 s2, 0xe8584caa
	s_mov_b32 s3, 0x3febb67a
	;; [unrolled: 1-line block ×3, first 2 shown]
	v_sub_nc_u16 v131, v148, v21
	s_wait_alu 0xfffe
	s_mov_b32 s14, s2
	s_delay_alu instid0(VALU_DEP_1) | instskip(SKIP_1) | instid1(VALU_DEP_1)
	v_lshlrev_b16 v22, 5, v131
	v_and_b32_e32 v20, 0xff, v144
	v_mul_lo_u16 v20, 0x4f, v20
	s_delay_alu instid0(VALU_DEP_1) | instskip(SKIP_1) | instid1(VALU_DEP_2)
	v_lshrrev_b16 v130, 11, v20
	v_mul_lo_u16 v20, v129, 26
	v_mul_lo_u16 v21, v130, 26
	s_delay_alu instid0(VALU_DEP_2) | instskip(NEXT) | instid1(VALU_DEP_2)
	v_sub_nc_u16 v132, v150, v20
	v_sub_nc_u16 v20, v144, v21
	v_and_b32_e32 v21, 0xffff, v22
	s_delay_alu instid0(VALU_DEP_3) | instskip(NEXT) | instid1(VALU_DEP_3)
	v_lshlrev_b16 v22, 5, v132
	v_and_b32_e32 v133, 0xff, v20
	s_delay_alu instid0(VALU_DEP_3)
	v_add_co_u32 v20, s1, s10, v21
	s_wait_alu 0xf1ff
	v_add_co_ci_u32_e64 v21, null, s11, 0, s1
	v_and_b32_e32 v22, 0xffff, v22
	v_lshlrev_b32_e32 v23, 5, v133
	s_clause 0x3
	global_load_b128 v[44:47], v[20:21], off offset:224
	global_load_b128 v[48:51], v[20:21], off offset:208
	global_load_b128 v[52:55], v23, s[10:11] offset:224
	global_load_b128 v[56:59], v23, s[10:11] offset:208
	v_add_co_u32 v20, s1, s10, v22
	s_wait_alu 0xf1ff
	v_add_co_ci_u32_e64 v21, null, s11, 0, s1
	v_cmp_gt_u16_e64 s1, 52, v144
	s_clause 0x1
	global_load_b128 v[64:67], v[20:21], off offset:208
	global_load_b128 v[60:63], v[20:21], off offset:224
	ds_load_b128 v[20:23], v255 offset:11648
	ds_load_b128 v[24:27], v255 offset:20384
	;; [unrolled: 1-line block ×7, first 2 shown]
                                        ; implicit-def: $vgpr144_vgpr145
	s_wait_loadcnt_dscnt 0x505
	v_mul_f64_e32 v[74:75], v[26:27], v[46:47]
	s_wait_loadcnt 0x4
	v_mul_f64_e32 v[72:73], v[22:23], v[50:51]
	s_wait_loadcnt_dscnt 0x303
	v_mul_f64_e32 v[78:79], v[34:35], v[54:55]
	s_wait_loadcnt 0x2
	v_mul_f64_e32 v[76:77], v[30:31], v[58:59]
	v_mul_f64_e32 v[80:81], v[28:29], v[58:59]
	;; [unrolled: 1-line block ×5, first 2 shown]
	s_wait_loadcnt_dscnt 0x102
	v_mul_f64_e32 v[88:89], v[38:39], v[66:67]
	s_wait_loadcnt_dscnt 0x1
	v_mul_f64_e32 v[90:91], v[42:43], v[62:63]
	v_mul_f64_e32 v[108:109], v[36:37], v[66:67]
	;; [unrolled: 1-line block ×3, first 2 shown]
	v_fma_f64 v[74:75], v[24:25], v[44:45], -v[74:75]
	v_fma_f64 v[72:73], v[20:21], v[48:49], -v[72:73]
	;; [unrolled: 1-line block ×4, first 2 shown]
	v_fma_f64 v[30:31], v[30:31], v[56:57], v[80:81]
	v_fma_f64 v[34:35], v[34:35], v[52:53], v[82:83]
	;; [unrolled: 1-line block ×4, first 2 shown]
	ds_load_b128 v[20:23], v255 offset:2912
	ds_load_b128 v[24:27], v255
	global_wb scope:SCOPE_SE
	s_wait_dscnt 0x0
	v_fma_f64 v[36:37], v[36:37], v[64:65], -v[88:89]
	v_fma_f64 v[40:41], v[40:41], v[60:61], -v[90:91]
	v_fma_f64 v[38:39], v[38:39], v[64:65], v[108:109]
	v_fma_f64 v[42:43], v[42:43], v[60:61], v[110:111]
	s_barrier_signal -1
	s_barrier_wait -1
	global_inv scope:SCOPE_SE
	v_add_f64_e32 v[80:81], v[72:73], v[74:75]
	v_add_f64_e32 v[108:109], v[20:21], v[72:73]
	;; [unrolled: 1-line block ×7, first 2 shown]
	v_add_f64_e64 v[110:111], v[76:77], -v[78:79]
	v_add_f64_e64 v[120:121], v[30:31], -v[34:35]
	;; [unrolled: 1-line block ×3, first 2 shown]
	v_add_f64_e32 v[88:89], v[36:37], v[40:41]
	v_add_f64_e64 v[72:73], v[72:73], -v[74:75]
	v_add_f64_e32 v[90:91], v[38:39], v[42:43]
	v_add_f64_e64 v[124:125], v[38:39], -v[42:43]
	v_add_f64_e64 v[126:127], v[36:37], -v[40:41]
	v_add_f64_e32 v[76:77], v[22:23], v[76:77]
	v_add_f64_e32 v[112:113], v[68:69], v[36:37]
	;; [unrolled: 1-line block ×3, first 2 shown]
	v_fma_f64 v[80:81], v[80:81], -0.5, v[20:21]
	v_add_f64_e32 v[20:21], v[108:109], v[74:75]
	v_fma_f64 v[82:83], v[82:83], -0.5, v[24:25]
	v_add_f64_e32 v[28:29], v[116:117], v[32:33]
	;; [unrolled: 2-line block ×3, first 2 shown]
	v_fma_f64 v[86:87], v[86:87], -0.5, v[22:23]
	v_and_b32_e32 v74, 0xffff, v130
	v_fma_f64 v[88:89], v[88:89], -0.5, v[68:69]
	v_fma_f64 v[90:91], v[90:91], -0.5, v[70:71]
	s_delay_alu instid0(VALU_DEP_3)
	v_mul_u32_u24_e32 v74, 0x4e, v74
	v_add_f64_e32 v[22:23], v[76:77], v[78:79]
	v_add_f64_e32 v[24:25], v[112:113], v[40:41]
	v_add_f64_e32 v[26:27], v[114:115], v[42:43]
	v_fma_f64 v[36:37], v[110:111], s[14:15], v[80:81]
	v_fma_f64 v[32:33], v[110:111], s[2:3], v[80:81]
	;; [unrolled: 1-line block ×8, first 2 shown]
	v_mad_u16 v72, 0x4e, v128, v131
	v_mad_u16 v73, 0x4e, v129, v132
	v_fma_f64 v[116:117], v[124:125], s[14:15], v[88:89]
	v_fma_f64 v[108:109], v[124:125], s[2:3], v[88:89]
	;; [unrolled: 1-line block ×4, first 2 shown]
	v_and_b32_e32 v72, 0xffff, v72
	v_and_b32_e32 v73, 0xffff, v73
	s_delay_alu instid0(VALU_DEP_2) | instskip(NEXT) | instid1(VALU_DEP_2)
	v_lshlrev_b32_e32 v75, 4, v72
	v_lshlrev_b32_e32 v72, 4, v73
	v_add_lshl_u32 v73, v74, v133, 4
	ds_store_b128 v73, v[28:31]
	ds_store_b128 v73, v[40:43] offset:416
	scratch_store_b32 off, v73, off offset:76 ; 4-byte Folded Spill
	ds_store_b128 v73, v[68:71] offset:832
	ds_store_b128 v75, v[20:23]
	ds_store_b128 v75, v[32:35] offset:416
	scratch_store_b32 off, v75, off offset:72 ; 4-byte Folded Spill
	ds_store_b128 v75, v[36:39] offset:832
	;; [unrolled: 4-line block ×3, first 2 shown]
	global_wb scope:SCOPE_SE
	s_wait_storecnt_dscnt 0x0
	s_barrier_signal -1
	s_barrier_wait -1
	global_inv scope:SCOPE_SE
	ds_load_b128 v[112:115], v255
	ds_load_b128 v[136:139], v255 offset:3744
	ds_load_b128 v[132:135], v255 offset:7488
	;; [unrolled: 1-line block ×6, first 2 shown]
	s_and_saveexec_b32 s2, s1
	s_cbranch_execz .LBB0_13
; %bb.12:
	ds_load_b128 v[108:111], v255 offset:2912
	ds_load_b128 v[116:119], v255 offset:6656
	;; [unrolled: 1-line block ×7, first 2 shown]
.LBB0_13:
	s_wait_alu 0xfffe
	s_or_b32 exec_lo, exec_lo, s2
	scratch_load_b32 v22, off, off          ; 4-byte Folded Reload
	v_lshrrev_b16 v21, 1, v148
	s_mov_b32 s14, 0x36b3c0b5
	s_mov_b32 s16, 0xe976ee23
	;; [unrolled: 1-line block ×4, first 2 shown]
	v_and_b32_e32 v21, 0xffff, v21
	s_mov_b32 s17, 0xbfe11646
	s_mov_b32 s19, 0x3febfeb5
	s_mov_b32 s22, 0xb247c609
	s_mov_b32 s21, 0xbfe77f67
	s_mov_b32 s23, 0x3fd5d0dc
	s_mov_b32 s25, 0xbfd5d0dc
	s_wait_alu 0xfffe
	s_mov_b32 s24, s22
	s_wait_loadcnt 0x0
	v_lshrrev_b16 v20, 1, v22
	s_delay_alu instid0(VALU_DEP_1) | instskip(NEXT) | instid1(VALU_DEP_1)
	v_and_b32_e32 v20, 0x7f, v20
	v_mul_lo_u16 v20, 0xd3, v20
	s_delay_alu instid0(VALU_DEP_1) | instskip(SKIP_1) | instid1(VALU_DEP_2)
	v_lshrrev_b16 v36, 13, v20
	v_mul_u32_u24_e32 v20, 0x6907, v21
	v_mul_lo_u16 v21, 0x4e, v36
	s_delay_alu instid0(VALU_DEP_2) | instskip(NEXT) | instid1(VALU_DEP_2)
	v_lshrrev_b32_e32 v20, 20, v20
	v_sub_nc_u16 v21, v22, v21
	s_delay_alu instid0(VALU_DEP_2) | instskip(NEXT) | instid1(VALU_DEP_2)
	v_mul_lo_u16 v20, 0x4e, v20
	v_and_b32_e32 v28, 0xff, v21
	s_delay_alu instid0(VALU_DEP_2) | instskip(NEXT) | instid1(VALU_DEP_2)
	v_sub_nc_u16 v29, v148, v20
	v_mad_co_u64_u32 v[20:21], null, 0x60, v28, s[10:11]
	s_delay_alu instid0(VALU_DEP_2)
	v_mul_lo_u16 v22, 0x60, v29
	v_and_b32_e32 v29, 0xffff, v29
	s_clause 0x3
	global_load_b128 v[80:83], v[20:21], off offset:1040
	global_load_b128 v[76:79], v[20:21], off offset:1056
	;; [unrolled: 1-line block ×4, first 2 shown]
	v_and_b32_e32 v22, 0xffff, v22
	s_delay_alu instid0(VALU_DEP_1)
	v_add_co_u32 v22, s2, s10, v22
	s_wait_alu 0xf1ff
	v_add_co_ci_u32_e64 v23, null, s11, 0, s2
	s_clause 0x7
	global_load_b128 v[182:185], v[22:23], off offset:1040
	global_load_b128 v[178:181], v[22:23], off offset:1056
	;; [unrolled: 1-line block ×8, first 2 shown]
	s_mov_b32 s2, 0x37e14327
	s_mov_b32 s3, 0x3fe948f6
	scratch_store_b32 off, v29, off offset:80 ; 4-byte Folded Spill
	s_wait_loadcnt_dscnt 0xb05
	v_mul_f64_e32 v[20:21], v[138:139], v[82:83]
	v_mul_f64_e32 v[22:23], v[136:137], v[82:83]
	s_wait_loadcnt_dscnt 0xa04
	v_mul_f64_e32 v[24:25], v[134:135], v[78:79]
	v_mul_f64_e32 v[26:27], v[132:133], v[78:79]
	;; [unrolled: 3-line block ×3, first 2 shown]
	s_wait_loadcnt 0x8
	v_mul_f64_e32 v[34:35], v[130:131], v[70:71]
	v_mul_f64_e32 v[152:153], v[128:129], v[70:71]
	s_wait_loadcnt 0x7
	v_mul_f64_e32 v[154:155], v[118:119], v[184:185]
	v_mul_f64_e32 v[156:157], v[116:117], v[184:185]
	;; [unrolled: 3-line block ×7, first 2 shown]
	scratch_store_b128 off, v[186:189], off offset:116 ; 16-byte Folded Spill
	s_wait_loadcnt 0x0
	s_clause 0x3
	scratch_store_b128 off, v[190:193], off offset:132
	scratch_store_b128 off, v[182:185], off offset:100
	;; [unrolled: 1-line block ×4, first 2 shown]
	v_fma_f64 v[20:21], v[136:137], v[80:81], -v[20:21]
	v_fma_f64 v[22:23], v[138:139], v[80:81], v[22:23]
	v_fma_f64 v[24:25], v[132:133], v[76:77], -v[24:25]
	v_fma_f64 v[26:27], v[134:135], v[76:77], v[26:27]
	;; [unrolled: 2-line block ×4, first 2 shown]
	v_mul_f64_e32 v[130:131], v[94:95], v[196:197]
	v_mul_f64_e32 v[132:133], v[92:93], v[196:197]
	;; [unrolled: 1-line block ×4, first 2 shown]
	v_fma_f64 v[116:117], v[116:117], v[182:183], -v[154:155]
	v_fma_f64 v[118:119], v[118:119], v[182:183], v[156:157]
	v_fma_f64 v[104:105], v[104:105], v[178:179], -v[158:159]
	v_fma_f64 v[106:107], v[106:107], v[178:179], v[160:161]
	;; [unrolled: 2-line block ×6, first 2 shown]
	v_add_f64_e32 v[142:143], v[20:21], v[30:31]
	v_add_f64_e32 v[144:145], v[22:23], v[32:33]
	;; [unrolled: 1-line block ×4, first 2 shown]
	v_fma_f64 v[92:93], v[92:93], v[194:195], -v[130:131]
	v_fma_f64 v[94:95], v[94:95], v[194:195], v[132:133]
	v_fma_f64 v[96:97], v[96:97], v[190:191], -v[134:135]
	v_fma_f64 v[98:99], v[98:99], v[190:191], v[136:137]
	v_add_f64_e64 v[24:25], v[24:25], -v[34:35]
	v_add_f64_e64 v[26:27], v[26:27], -v[128:129]
	;; [unrolled: 1-line block ×4, first 2 shown]
	v_add_f64_e32 v[130:131], v[116:117], v[138:139]
	v_add_f64_e32 v[132:133], v[118:119], v[140:141]
	;; [unrolled: 1-line block ×4, first 2 shown]
	v_add_f64_e64 v[100:101], v[104:105], -v[100:101]
	v_add_f64_e64 v[102:103], v[106:107], -v[102:103]
	v_add_f64_e32 v[34:35], v[124:125], v[120:121]
	v_add_f64_e32 v[128:129], v[126:127], v[122:123]
	v_add_f64_e64 v[120:121], v[120:121], -v[124:125]
	v_add_f64_e64 v[122:123], v[122:123], -v[126:127]
	v_add_f64_e32 v[30:31], v[146:147], v[142:143]
	v_add_f64_e32 v[32:33], v[152:153], v[144:145]
	;; [unrolled: 1-line block ×4, first 2 shown]
	v_add_f64_e64 v[92:93], v[96:97], -v[92:93]
	v_add_f64_e64 v[94:95], v[98:99], -v[94:95]
	;; [unrolled: 1-line block ×6, first 2 shown]
	v_add_f64_e32 v[116:117], v[134:135], v[130:131]
	v_add_f64_e32 v[118:119], v[136:137], v[132:133]
	v_add_f64_e64 v[124:125], v[142:143], -v[34:35]
	v_add_f64_e64 v[126:127], v[144:145], -v[128:129]
	;; [unrolled: 1-line block ×6, first 2 shown]
	v_add_f64_e32 v[24:25], v[120:121], v[24:25]
	v_add_f64_e32 v[26:27], v[122:123], v[26:27]
	v_add_f64_e64 v[120:121], v[20:21], -v[120:121]
	v_add_f64_e64 v[122:123], v[22:23], -v[122:123]
	v_add_f64_e32 v[158:159], v[34:35], v[30:31]
	v_add_f64_e32 v[160:161], v[128:129], v[32:33]
	v_add_f64_e64 v[34:35], v[34:35], -v[146:147]
	v_add_f64_e64 v[128:129], v[128:129], -v[152:153]
	;; [unrolled: 1-line block ×8, first 2 shown]
	v_add_f64_e32 v[100:101], v[92:93], v[100:101]
	v_add_f64_e32 v[102:103], v[94:95], v[102:103]
	;; [unrolled: 1-line block ×4, first 2 shown]
	v_add_f64_e64 v[104:105], v[104:105], -v[134:135]
	v_add_f64_e64 v[106:107], v[106:107], -v[136:137]
	s_wait_alu 0xfffe
	v_mul_f64_e32 v[124:125], s[2:3], v[124:125]
	v_mul_f64_e32 v[126:127], s[2:3], v[126:127]
	;; [unrolled: 1-line block ×4, first 2 shown]
	v_add_f64_e64 v[130:131], v[134:135], -v[130:131]
	v_add_f64_e64 v[132:133], v[136:137], -v[132:133]
	v_mul_f64_e32 v[134:135], s[18:19], v[154:155]
	v_mul_f64_e32 v[136:137], s[18:19], v[156:157]
	v_add_f64_e32 v[20:21], v[24:25], v[20:21]
	v_add_f64_e32 v[22:23], v[26:27], v[22:23]
	;; [unrolled: 1-line block ×4, first 2 shown]
	v_add_f64_e64 v[112:113], v[96:97], -v[92:93]
	v_add_f64_e64 v[114:115], v[98:99], -v[94:95]
	v_mul_f64_e32 v[146:147], s[14:15], v[34:35]
	v_mul_f64_e32 v[152:153], s[14:15], v[128:129]
	;; [unrolled: 1-line block ×8, first 2 shown]
	v_add_f64_e32 v[92:93], v[108:109], v[116:117]
	v_add_f64_e32 v[94:95], v[110:111], v[118:119]
	v_mul_f64_e32 v[108:109], s[14:15], v[104:105]
	v_mul_f64_e32 v[110:111], s[14:15], v[106:107]
	s_mov_b32 s2, 0xaaaaaaaa
	s_mov_b32 s16, 0x5476071b
	;; [unrolled: 1-line block ×4, first 2 shown]
	s_wait_alu 0xfffe
	s_mov_b32 s20, s16
	v_add_f64_e32 v[24:25], v[100:101], v[96:97]
	v_add_f64_e32 v[26:27], v[102:103], v[98:99]
	v_fma_f64 v[34:35], v[34:35], s[14:15], v[124:125]
	v_fma_f64 v[96:97], v[128:129], s[14:15], v[126:127]
	;; [unrolled: 1-line block ×4, first 2 shown]
	v_fma_f64 v[102:103], v[154:155], s[18:19], -v[138:139]
	v_fma_f64 v[128:129], v[156:157], s[18:19], -v[140:141]
	v_fma_f64 v[120:121], v[120:121], s[24:25], -v[134:135]
	v_fma_f64 v[122:123], v[122:123], s[24:25], -v[136:137]
	s_wait_alu 0xfffe
	v_fma_f64 v[124:125], v[142:143], s[20:21], -v[124:125]
	v_fma_f64 v[126:127], v[144:145], s[20:21], -v[126:127]
	v_fma_f64 v[134:135], v[158:159], s[2:3], v[30:31]
	v_fma_f64 v[136:137], v[160:161], s[2:3], v[32:33]
	v_fma_f64 v[138:139], v[142:143], s[16:17], -v[146:147]
	v_fma_f64 v[140:141], v[144:145], s[16:17], -v[152:153]
	v_fma_f64 v[142:143], v[130:131], s[20:21], -v[162:163]
	v_fma_f64 v[144:145], v[132:133], s[20:21], -v[164:165]
	v_fma_f64 v[146:147], v[170:171], s[18:19], -v[166:167]
	v_fma_f64 v[152:153], v[172:173], s[18:19], -v[168:169]
	v_fma_f64 v[154:155], v[112:113], s[24:25], -v[174:175]
	v_fma_f64 v[156:157], v[114:115], s[24:25], -v[176:177]
	v_fma_f64 v[116:117], v[116:117], s[2:3], v[92:93]
	v_fma_f64 v[118:119], v[118:119], s[2:3], v[94:95]
	v_fma_f64 v[108:109], v[130:131], s[16:17], -v[108:109]
	v_fma_f64 v[110:111], v[132:133], s[16:17], -v[110:111]
	v_fma_f64 v[112:113], v[112:113], s[22:23], v[166:167]
	v_fma_f64 v[114:115], v[114:115], s[22:23], v[168:169]
	;; [unrolled: 1-line block ×4, first 2 shown]
	s_mov_b32 s2, 0x37c3f68c
	s_mov_b32 s3, 0x3fdc38aa
	s_wait_alu 0xfffe
	v_fma_f64 v[130:131], v[20:21], s[2:3], v[98:99]
	v_fma_f64 v[132:133], v[22:23], s[2:3], v[100:101]
	;; [unrolled: 1-line block ×6, first 2 shown]
	v_add_f64_e32 v[34:35], v[34:35], v[134:135]
	v_add_f64_e32 v[160:161], v[96:97], v[136:137]
	;; [unrolled: 1-line block ×6, first 2 shown]
	v_fma_f64 v[138:139], v[24:25], s[2:3], v[146:147]
	v_fma_f64 v[140:141], v[26:27], s[2:3], v[152:153]
	;; [unrolled: 1-line block ×4, first 2 shown]
	v_add_f64_e32 v[142:143], v[142:143], v[116:117]
	v_add_f64_e32 v[144:145], v[144:145], v[118:119]
	;; [unrolled: 1-line block ×4, first 2 shown]
	v_fma_f64 v[24:25], v[24:25], s[2:3], v[112:113]
	v_fma_f64 v[20:21], v[26:27], s[2:3], v[114:115]
	v_add_f64_e32 v[22:23], v[104:105], v[116:117]
	v_add_f64_e32 v[26:27], v[106:107], v[118:119]
	;; [unrolled: 1-line block ×3, first 2 shown]
	v_add_f64_e64 v[98:99], v[160:161], -v[130:131]
	v_add_f64_e32 v[100:101], v[122:123], v[124:125]
	v_add_f64_e64 v[102:103], v[126:127], -v[120:121]
	v_add_f64_e64 v[104:105], v[134:135], -v[128:129]
	v_add_f64_e32 v[106:107], v[158:159], v[136:137]
	v_add_f64_e32 v[108:109], v[128:129], v[134:135]
	v_add_f64_e64 v[110:111], v[136:137], -v[158:159]
	v_add_f64_e64 v[112:113], v[124:125], -v[122:123]
	v_add_f64_e32 v[114:115], v[120:121], v[126:127]
	v_add_f64_e64 v[116:117], v[34:35], -v[132:133]
	v_add_f64_e32 v[118:119], v[130:131], v[160:161]
	v_add_f64_e32 v[132:133], v[152:153], v[142:143]
	v_add_f64_e64 v[134:135], v[144:145], -v[146:147]
	v_add_f64_e64 v[128:129], v[154:155], -v[140:141]
	v_add_f64_e32 v[130:131], v[138:139], v[156:157]
	v_add_f64_e32 v[124:125], v[140:141], v[154:155]
	v_add_f64_e64 v[126:127], v[156:157], -v[138:139]
	v_add_f64_e64 v[120:121], v[142:143], -v[152:153]
	v_add_f64_e32 v[122:123], v[146:147], v[144:145]
	v_add_f64_e64 v[136:137], v[22:23], -v[20:21]
	v_add_f64_e32 v[138:139], v[24:25], v[26:27]
	v_and_b32_e32 v34, 0xffff, v36
	s_delay_alu instid0(VALU_DEP_1) | instskip(NEXT) | instid1(VALU_DEP_1)
	v_mul_u32_u24_e32 v34, 0x222, v34
	v_add_lshl_u32 v192, v34, v28, 4
	scratch_store_b128 off, v[136:139], off offset:12 ; 16-byte Folded Spill
	global_wb scope:SCOPE_SE
	s_wait_storecnt 0x0
	s_barrier_signal -1
	s_barrier_wait -1
	global_inv scope:SCOPE_SE
	ds_store_b128 v192, v[30:33]
	ds_store_b128 v192, v[96:99] offset:1248
	ds_store_b128 v192, v[100:103] offset:2496
	;; [unrolled: 1-line block ×6, first 2 shown]
	s_and_saveexec_b32 s2, s1
	s_cbranch_execz .LBB0_15
; %bb.14:
	v_add_f64_e32 v[22:23], v[20:21], v[22:23]
	scratch_load_b32 v20, off, off offset:80 ; 4-byte Folded Reload
	v_add_f64_e64 v[24:25], v[26:27], -v[24:25]
	s_wait_loadcnt 0x0
	v_lshlrev_b32_e32 v20, 4, v20
	ds_store_b128 v20, v[132:135] offset:19968
	ds_store_b128 v20, v[128:131] offset:21216
	;; [unrolled: 1-line block ×6, first 2 shown]
	scratch_load_b128 v[21:24], off, off offset:12 ; 16-byte Folded Reload
	s_wait_loadcnt 0x0
	ds_store_b128 v20, v[21:24] offset:24960
.LBB0_15:
	s_wait_alu 0xfffe
	s_or_b32 exec_lo, exec_lo, s2
	global_wb scope:SCOPE_SE
	s_wait_dscnt 0x0
	scratch_load_b32 v20, off, off          ; 4-byte Folded Reload
	s_wait_loadcnt 0x0
	s_barrier_signal -1
	s_barrier_wait -1
	global_inv scope:SCOPE_SE
	v_lshlrev_b32_e32 v22, 5, v20
	v_lshlrev_b64_e32 v[20:21], 5, v[148:149]
	s_clause 0x1
	global_load_b128 v[92:95], v22, s[10:11] offset:8544
	global_load_b128 v[96:99], v22, s[10:11] offset:8528
	v_lshlrev_b64_e32 v[22:23], 5, v[150:151]
	v_add_co_u32 v20, s2, s10, v20
	s_wait_alu 0xf1ff
	v_add_co_ci_u32_e64 v21, s2, s11, v21, s2
	s_delay_alu instid0(VALU_DEP_3)
	v_add_co_u32 v22, s2, s10, v22
	s_wait_alu 0xf1ff
	v_add_co_ci_u32_e64 v23, s2, s11, v23, s2
	s_clause 0x3
	global_load_b128 v[104:107], v[20:21], off offset:8528
	global_load_b128 v[100:103], v[20:21], off offset:8544
	;; [unrolled: 1-line block ×4, first 2 shown]
	ds_load_b128 v[20:23], v255 offset:8736
	ds_load_b128 v[24:27], v255 offset:17472
	;; [unrolled: 1-line block ×7, first 2 shown]
	s_mov_b32 s2, 0xe8584caa
	s_mov_b32 s3, 0x3febb67a
	;; [unrolled: 1-line block ×3, first 2 shown]
	s_wait_alu 0xfffe
	s_mov_b32 s10, s2
	s_wait_loadcnt_dscnt 0x505
	v_mul_f64_e32 v[146:147], v[26:27], v[94:95]
	s_wait_loadcnt 0x4
	v_mul_f64_e32 v[144:145], v[22:23], v[98:99]
	v_mul_f64_e32 v[148:149], v[20:21], v[98:99]
	;; [unrolled: 1-line block ×3, first 2 shown]
	s_wait_loadcnt_dscnt 0x304
	v_mul_f64_e32 v[152:153], v[30:31], v[106:107]
	s_wait_loadcnt_dscnt 0x203
	v_mul_f64_e32 v[154:155], v[34:35], v[102:103]
	v_mul_f64_e32 v[156:157], v[28:29], v[106:107]
	;; [unrolled: 1-line block ×3, first 2 shown]
	s_wait_loadcnt_dscnt 0x102
	v_mul_f64_e32 v[160:161], v[118:119], v[114:115]
	s_wait_loadcnt_dscnt 0x1
	v_mul_f64_e32 v[162:163], v[138:139], v[110:111]
	v_mul_f64_e32 v[164:165], v[116:117], v[114:115]
	;; [unrolled: 1-line block ×3, first 2 shown]
	v_fma_f64 v[146:147], v[24:25], v[92:93], -v[146:147]
	v_fma_f64 v[144:145], v[20:21], v[96:97], -v[144:145]
	v_fma_f64 v[148:149], v[22:23], v[96:97], v[148:149]
	v_fma_f64 v[150:151], v[26:27], v[92:93], v[150:151]
	ds_load_b128 v[20:23], v255
	ds_load_b128 v[24:27], v255 offset:2912
	v_fma_f64 v[28:29], v[28:29], v[104:105], -v[152:153]
	v_fma_f64 v[32:33], v[32:33], v[100:101], -v[154:155]
	v_fma_f64 v[30:31], v[30:31], v[104:105], v[156:157]
	v_fma_f64 v[34:35], v[34:35], v[100:101], v[158:159]
	v_fma_f64 v[116:117], v[116:117], v[112:113], -v[160:161]
	v_fma_f64 v[152:153], v[136:137], v[108:109], -v[162:163]
	v_fma_f64 v[118:119], v[118:119], v[112:113], v[164:165]
	v_fma_f64 v[154:155], v[138:139], v[108:109], v[166:167]
	v_add_f64_e32 v[136:137], v[144:145], v[146:147]
	s_wait_dscnt 0x1
	v_add_f64_e32 v[164:165], v[20:21], v[144:145]
	v_add_f64_e32 v[138:139], v[148:149], v[150:151]
	v_add_f64_e64 v[166:167], v[148:149], -v[150:151]
	v_add_f64_e32 v[148:149], v[22:23], v[148:149]
	v_add_f64_e64 v[144:145], v[144:145], -v[146:147]
	s_wait_dscnt 0x0
	v_add_f64_e32 v[168:169], v[24:25], v[28:29]
	v_add_f64_e32 v[156:157], v[28:29], v[32:33]
	;; [unrolled: 1-line block ×8, first 2 shown]
	v_add_f64_e64 v[30:31], v[30:31], -v[34:35]
	v_add_f64_e64 v[28:29], v[28:29], -v[32:33]
	;; [unrolled: 1-line block ×4, first 2 shown]
	v_fma_f64 v[20:21], v[136:137], -0.5, v[20:21]
	v_add_f64_e32 v[136:137], v[164:165], v[146:147]
	v_fma_f64 v[22:23], v[138:139], -0.5, v[22:23]
	v_add_f64_e32 v[138:139], v[148:149], v[150:151]
	v_add_f64_e32 v[168:169], v[168:169], v[32:33]
	v_fma_f64 v[24:25], v[156:157], -0.5, v[24:25]
	v_add_f64_e32 v[170:171], v[170:171], v[34:35]
	v_fma_f64 v[26:27], v[158:159], -0.5, v[26:27]
	;; [unrolled: 2-line block ×4, first 2 shown]
	v_fma_f64 v[156:157], v[166:167], s[2:3], v[20:21]
	s_wait_alu 0xfffe
	v_fma_f64 v[164:165], v[166:167], s[10:11], v[20:21]
	v_fma_f64 v[158:159], v[144:145], s[10:11], v[22:23]
	;; [unrolled: 1-line block ×11, first 2 shown]
	ds_store_b128 v255, v[136:139]
	ds_store_b128 v255, v[168:171] offset:2912
	ds_store_b128 v255, v[156:159] offset:8736
	;; [unrolled: 1-line block ×8, first 2 shown]
	global_wb scope:SCOPE_SE
	s_wait_dscnt 0x0
	s_barrier_signal -1
	s_barrier_wait -1
	global_inv scope:SCOPE_SE
	s_and_saveexec_b32 s10, vcc_lo
	s_cbranch_execz .LBB0_17
; %bb.16:
	global_load_b128 v[20:23], v255, s[8:9] offset:26208
	s_add_nc_u64 s[2:3], s[8:9], 0x6660
	s_clause 0x3
	global_load_b128 v[24:27], v255, s[2:3] offset:2016
	global_load_b128 v[28:31], v255, s[2:3] offset:4032
	;; [unrolled: 1-line block ×4, first 2 shown]
	ds_load_b128 v[140:143], v255
	ds_load_b128 v[144:147], v255 offset:2016
	ds_load_b128 v[148:151], v255 offset:24192
	s_wait_loadcnt_dscnt 0x301
	v_mul_f64_e32 v[188:189], v[146:147], v[26:27]
	v_mul_f64_e32 v[184:185], v[142:143], v[22:23]
	;; [unrolled: 1-line block ×4, first 2 shown]
	s_delay_alu instid0(VALU_DEP_4) | instskip(NEXT) | instid1(VALU_DEP_4)
	v_fma_f64 v[144:145], v[144:145], v[24:25], -v[188:189]
	v_fma_f64 v[140:141], v[140:141], v[20:21], -v[184:185]
	s_delay_alu instid0(VALU_DEP_4)
	v_fma_f64 v[142:143], v[142:143], v[20:21], v[22:23]
	ds_load_b128 v[20:23], v255 offset:4032
	ds_load_b128 v[184:187], v255 offset:6048
	v_fma_f64 v[146:147], v[146:147], v[24:25], v[26:27]
	s_wait_loadcnt_dscnt 0x201
	v_mul_f64_e32 v[24:25], v[22:23], v[30:31]
	v_mul_f64_e32 v[26:27], v[20:21], v[30:31]
	s_wait_loadcnt_dscnt 0x100
	v_mul_f64_e32 v[188:189], v[186:187], v[34:35]
	v_mul_f64_e32 v[34:35], v[184:185], v[34:35]
	s_delay_alu instid0(VALU_DEP_4) | instskip(NEXT) | instid1(VALU_DEP_4)
	v_fma_f64 v[20:21], v[20:21], v[28:29], -v[24:25]
	v_fma_f64 v[22:23], v[22:23], v[28:29], v[26:27]
	ds_load_b128 v[28:31], v255 offset:8064
	global_load_b128 v[24:27], v255, s[2:3] offset:10080
	v_fma_f64 v[184:185], v[184:185], v[32:33], -v[188:189]
	v_fma_f64 v[186:187], v[186:187], v[32:33], v[34:35]
	ds_load_b128 v[32:35], v255 offset:10080
	s_wait_loadcnt_dscnt 0x101
	v_mul_f64_e32 v[188:189], v[30:31], v[118:119]
	v_mul_f64_e32 v[118:119], v[28:29], v[118:119]
	s_delay_alu instid0(VALU_DEP_2) | instskip(NEXT) | instid1(VALU_DEP_2)
	v_fma_f64 v[28:29], v[28:29], v[116:117], -v[188:189]
	v_fma_f64 v[30:31], v[30:31], v[116:117], v[118:119]
	global_load_b128 v[116:119], v255, s[2:3] offset:12096
	s_wait_loadcnt_dscnt 0x100
	v_mul_f64_e32 v[188:189], v[34:35], v[26:27]
	v_mul_f64_e32 v[26:27], v[32:33], v[26:27]
	s_delay_alu instid0(VALU_DEP_2) | instskip(NEXT) | instid1(VALU_DEP_2)
	v_fma_f64 v[32:33], v[32:33], v[24:25], -v[188:189]
	v_fma_f64 v[34:35], v[34:35], v[24:25], v[26:27]
	ds_load_b128 v[24:27], v255 offset:12096
	ds_load_b128 v[188:191], v255 offset:14112
	s_wait_loadcnt_dscnt 0x1
	v_mul_f64_e32 v[193:194], v[26:27], v[118:119]
	v_mul_f64_e32 v[118:119], v[24:25], v[118:119]
	s_delay_alu instid0(VALU_DEP_2) | instskip(NEXT) | instid1(VALU_DEP_2)
	v_fma_f64 v[24:25], v[24:25], v[116:117], -v[193:194]
	v_fma_f64 v[26:27], v[26:27], v[116:117], v[118:119]
	s_clause 0x1
	global_load_b128 v[116:119], v255, s[2:3] offset:14112
	global_load_b128 v[193:196], v255, s[2:3] offset:16128
	s_wait_loadcnt_dscnt 0x100
	v_mul_f64_e32 v[197:198], v[190:191], v[118:119]
	v_mul_f64_e32 v[118:119], v[188:189], v[118:119]
	s_delay_alu instid0(VALU_DEP_2) | instskip(NEXT) | instid1(VALU_DEP_2)
	v_fma_f64 v[188:189], v[188:189], v[116:117], -v[197:198]
	v_fma_f64 v[190:191], v[190:191], v[116:117], v[118:119]
	ds_load_b128 v[116:119], v255 offset:16128
	ds_load_b128 v[197:200], v255 offset:18144
	s_wait_loadcnt_dscnt 0x1
	v_mul_f64_e32 v[201:202], v[118:119], v[195:196]
	v_mul_f64_e32 v[195:196], v[116:117], v[195:196]
	s_delay_alu instid0(VALU_DEP_2) | instskip(NEXT) | instid1(VALU_DEP_2)
	v_fma_f64 v[116:117], v[116:117], v[193:194], -v[201:202]
	v_fma_f64 v[118:119], v[118:119], v[193:194], v[195:196]
	s_clause 0x1
	global_load_b128 v[193:196], v255, s[2:3] offset:18144
	;; [unrolled: 17-line block ×3, first 2 shown]
	global_load_b128 v[213:216], v255, s[2:3] offset:24192
	s_wait_loadcnt_dscnt 0x100
	v_mul_f64_e32 v[193:194], v[211:212], v[205:206]
	v_mul_f64_e32 v[207:208], v[209:210], v[205:206]
	s_delay_alu instid0(VALU_DEP_2) | instskip(NEXT) | instid1(VALU_DEP_2)
	v_fma_f64 v[205:206], v[209:210], v[203:204], -v[193:194]
	v_fma_f64 v[207:208], v[211:212], v[203:204], v[207:208]
	s_wait_loadcnt 0x0
	v_mul_f64_e32 v[193:194], v[150:151], v[215:216]
	v_mul_f64_e32 v[203:204], v[148:149], v[215:216]
	s_delay_alu instid0(VALU_DEP_2) | instskip(NEXT) | instid1(VALU_DEP_2)
	v_fma_f64 v[148:149], v[148:149], v[213:214], -v[193:194]
	v_fma_f64 v[150:151], v[150:151], v[213:214], v[203:204]
	ds_store_b128 v255, v[140:143]
	ds_store_b128 v255, v[144:147] offset:2016
	ds_store_b128 v255, v[20:23] offset:4032
	;; [unrolled: 1-line block ×12, first 2 shown]
.LBB0_17:
	s_wait_alu 0xfffe
	s_or_b32 exec_lo, exec_lo, s10
	global_wb scope:SCOPE_SE
	s_wait_dscnt 0x0
	s_barrier_signal -1
	s_barrier_wait -1
	global_inv scope:SCOPE_SE
	s_and_saveexec_b32 s2, vcc_lo
	s_cbranch_execz .LBB0_19
; %bb.18:
	ds_load_b128 v[136:139], v255
	ds_load_b128 v[156:159], v255 offset:2016
	ds_load_b128 v[164:167], v255 offset:4032
	;; [unrolled: 1-line block ×12, first 2 shown]
.LBB0_19:
	s_wait_alu 0xfffe
	s_or_b32 exec_lo, exec_lo, s2
	s_wait_dscnt 0x0
	v_add_f64_e64 v[205:206], v[158:159], -v[122:123]
	s_mov_b32 s20, 0x4267c47c
	s_mov_b32 s21, 0xbfddbe06
	v_add_f64_e32 v[201:202], v[156:157], v[120:121]
	v_add_f64_e64 v[217:218], v[166:167], -v[126:127]
	v_add_f64_e32 v[215:216], v[166:167], v[126:127]
	s_mov_b32 s10, 0xe00740e9
	s_mov_b32 s2, 0x1ea71119
	;; [unrolled: 1-line block ×6, first 2 shown]
	v_add_f64_e32 v[193:194], v[164:165], v[124:125]
	v_add_f64_e32 v[231:232], v[158:159], v[122:123]
	v_add_f64_e64 v[219:220], v[156:157], -v[120:121]
	v_add_f64_e64 v[197:198], v[164:165], -v[124:125]
	v_add_f64_e64 v[235:236], v[170:171], -v[130:131]
	s_mov_b32 s18, 0x66966769
	s_mov_b32 s19, 0xbfefc445
	v_add_f64_e32 v[207:208], v[168:169], v[128:129]
	s_mov_b32 s16, 0xebaa3ed8
	s_mov_b32 s17, 0x3fbedb7d
	v_add_f64_e32 v[233:234], v[170:171], v[130:131]
	v_add_f64_e64 v[211:212], v[168:169], -v[128:129]
	v_add_f64_e64 v[247:248], v[182:183], -v[134:135]
	s_mov_b32 s24, 0x2ef20147
	s_mov_b32 s25, 0xbfedeba7
	v_add_f64_e32 v[223:224], v[180:181], v[132:133]
	s_mov_b32 s22, 0xb2365da1
	s_mov_b32 s23, 0xbfd6b1d8
	v_add_f64_e32 v[245:246], v[182:183], v[134:135]
	v_add_f64_e64 v[227:228], v[180:181], -v[132:133]
	v_add_f64_e64 v[203:204], v[178:179], -v[154:155]
	s_mov_b32 s28, 0x24c2f84
	s_mov_b32 s29, 0xbfe5384d
	v_add_f64_e32 v[237:238], v[176:177], v[152:153]
	s_mov_b32 s26, 0xd0032e0c
	s_mov_b32 s27, 0xbfe7f3cc
	s_wait_alu 0xfffe
	v_mul_f64_e32 v[20:21], s[20:21], v[205:206]
	v_add_f64_e32 v[199:200], v[178:179], v[154:155]
	v_add_f64_e64 v[241:242], v[176:177], -v[152:153]
	v_add_f64_e64 v[209:210], v[174:175], -v[162:163]
	v_mul_f64_e32 v[38:39], s[14:15], v[217:218]
	v_mul_f64_e32 v[24:25], s[2:3], v[215:216]
	v_add_f64_e32 v[249:250], v[172:173], v[160:161]
	s_mov_b32 s30, 0x93053d00
	s_mov_b32 s31, 0xbfef11f4
	v_add_f64_e32 v[251:252], v[174:175], v[162:163]
	v_add_f64_e64 v[253:254], v[172:173], -v[160:161]
	s_mov_b32 s40, s28
	s_mov_b32 s39, 0x3fefc445
	;; [unrolled: 1-line block ×5, first 2 shown]
	v_mul_f64_e32 v[26:27], s[18:19], v[205:206]
	v_mul_f64_e32 v[213:214], s[16:17], v[231:232]
	s_mov_b32 s45, 0x3fedeba7
	s_mov_b32 s44, s24
	v_mul_f64_e32 v[28:29], s[24:25], v[205:206]
	v_mul_f64_e32 v[30:31], s[22:23], v[231:232]
	s_mov_b32 s43, 0x3fcea1e5
	s_mov_b32 s42, s34
	;; [unrolled: 1-line block ×4, first 2 shown]
	v_mul_f64_e32 v[32:33], s[28:29], v[205:206]
	s_wait_alu 0xfffe
	v_mul_f64_e32 v[221:222], s[38:39], v[217:218]
	v_mul_f64_e32 v[34:35], s[26:27], v[231:232]
	;; [unrolled: 1-line block ×7, first 2 shown]
	scratch_store_b64 off, v[20:21], off offset:172 ; 8-byte Folded Spill
	v_fma_f64 v[20:21], v[201:202], s[10:11], -v[20:21]
	v_mul_f64_e32 v[195:196], s[24:25], v[209:210]
	v_fma_f64 v[22:23], v[193:194], s[2:3], -v[38:39]
	scratch_store_b64 off, v[24:25], off offset:164 ; 8-byte Folded Spill
	v_fma_f64 v[24:25], v[197:198], s[14:15], v[24:25]
	v_mul_f64_e32 v[116:117], s[2:3], v[251:252]
	v_add_f64_e32 v[20:21], v[136:137], v[20:21]
	s_delay_alu instid0(VALU_DEP_1) | instskip(SKIP_3) | instid1(VALU_DEP_1)
	v_add_f64_e32 v[20:21], v[22:23], v[20:21]
	v_mul_f64_e32 v[22:23], s[10:11], v[231:232]
	scratch_store_b64 off, v[22:23], off offset:196 ; 8-byte Folded Spill
	v_fma_f64 v[22:23], v[219:220], s[20:21], v[22:23]
	v_add_f64_e32 v[22:23], v[138:139], v[22:23]
	s_delay_alu instid0(VALU_DEP_1) | instskip(SKIP_3) | instid1(VALU_DEP_1)
	v_add_f64_e32 v[22:23], v[24:25], v[22:23]
	v_mul_f64_e32 v[24:25], s[18:19], v[235:236]
	scratch_store_b64 off, v[24:25], off offset:180 ; 8-byte Folded Spill
	v_fma_f64 v[24:25], v[207:208], s[16:17], -v[24:25]
	v_add_f64_e32 v[20:21], v[24:25], v[20:21]
	v_mul_f64_e32 v[24:25], s[16:17], v[233:234]
	scratch_store_b64 off, v[24:25], off offset:188 ; 8-byte Folded Spill
	v_fma_f64 v[24:25], v[211:212], s[18:19], v[24:25]
	s_delay_alu instid0(VALU_DEP_1) | instskip(SKIP_3) | instid1(VALU_DEP_1)
	v_add_f64_e32 v[22:23], v[24:25], v[22:23]
	v_mul_f64_e32 v[24:25], s[24:25], v[247:248]
	scratch_store_b64 off, v[24:25], off offset:204 ; 8-byte Folded Spill
	v_fma_f64 v[24:25], v[223:224], s[22:23], -v[24:25]
	v_add_f64_e32 v[20:21], v[24:25], v[20:21]
	v_mul_f64_e32 v[24:25], s[22:23], v[245:246]
	scratch_store_b64 off, v[24:25], off offset:212 ; 8-byte Folded Spill
	v_fma_f64 v[24:25], v[227:228], s[24:25], v[24:25]
	;; [unrolled: 9-line block ×3, first 2 shown]
	s_delay_alu instid0(VALU_DEP_1) | instskip(SKIP_3) | instid1(VALU_DEP_1)
	v_add_f64_e32 v[22:23], v[24:25], v[22:23]
	v_mul_f64_e32 v[24:25], s[34:35], v[209:210]
	scratch_store_b64 off, v[24:25], off offset:236 ; 8-byte Folded Spill
	v_fma_f64 v[24:25], v[249:250], s[30:31], -v[24:25]
	v_add_f64_e32 v[140:141], v[24:25], v[20:21]
	v_mul_f64_e32 v[20:21], s[30:31], v[251:252]
	v_mul_f64_e32 v[24:25], s[22:23], v[215:216]
	s_clause 0x1
	scratch_store_b64 off, v[20:21], off offset:244
	scratch_store_b64 off, v[24:25], off offset:268
	v_fma_f64 v[20:21], v[253:254], s[34:35], v[20:21]
	v_fma_f64 v[24:25], v[197:198], s[24:25], v[24:25]
	s_delay_alu instid0(VALU_DEP_2)
	v_add_f64_e32 v[142:143], v[20:21], v[22:23]
	v_mul_f64_e32 v[20:21], s[14:15], v[205:206]
	v_mul_f64_e32 v[22:23], s[24:25], v[217:218]
	s_clause 0x1
	scratch_store_b64 off, v[20:21], off offset:468
	scratch_store_b64 off, v[22:23], off offset:252
	v_fma_f64 v[20:21], v[201:202], s[2:3], -v[20:21]
	v_fma_f64 v[22:23], v[193:194], s[22:23], -v[22:23]
	s_delay_alu instid0(VALU_DEP_2) | instskip(NEXT) | instid1(VALU_DEP_1)
	v_add_f64_e32 v[20:21], v[136:137], v[20:21]
	v_add_f64_e32 v[20:21], v[22:23], v[20:21]
	v_mul_f64_e32 v[22:23], s[2:3], v[231:232]
	scratch_store_b64 off, v[22:23], off offset:484 ; 8-byte Folded Spill
	v_fma_f64 v[22:23], v[219:220], s[14:15], v[22:23]
	s_delay_alu instid0(VALU_DEP_1) | instskip(NEXT) | instid1(VALU_DEP_1)
	v_add_f64_e32 v[22:23], v[138:139], v[22:23]
	v_add_f64_e32 v[22:23], v[24:25], v[22:23]
	v_mul_f64_e32 v[24:25], s[34:35], v[235:236]
	scratch_store_b64 off, v[24:25], off offset:260 ; 8-byte Folded Spill
	v_fma_f64 v[24:25], v[207:208], s[30:31], -v[24:25]
	s_delay_alu instid0(VALU_DEP_1) | instskip(SKIP_3) | instid1(VALU_DEP_1)
	v_add_f64_e32 v[20:21], v[24:25], v[20:21]
	v_mul_f64_e32 v[24:25], s[30:31], v[233:234]
	scratch_store_b64 off, v[24:25], off offset:284 ; 8-byte Folded Spill
	v_fma_f64 v[24:25], v[211:212], s[34:35], v[24:25]
	v_add_f64_e32 v[22:23], v[24:25], v[22:23]
	v_mul_f64_e32 v[24:25], s[40:41], v[247:248]
	scratch_store_b64 off, v[24:25], off offset:276 ; 8-byte Folded Spill
	v_fma_f64 v[24:25], v[223:224], s[26:27], -v[24:25]
	s_delay_alu instid0(VALU_DEP_1) | instskip(SKIP_3) | instid1(VALU_DEP_1)
	v_add_f64_e32 v[20:21], v[24:25], v[20:21]
	v_mul_f64_e32 v[24:25], s[26:27], v[245:246]
	scratch_store_b64 off, v[24:25], off offset:300 ; 8-byte Folded Spill
	v_fma_f64 v[24:25], v[227:228], s[40:41], v[24:25]
	;; [unrolled: 9-line block ×3, first 2 shown]
	v_add_f64_e32 v[22:23], v[24:25], v[22:23]
	v_mul_f64_e32 v[24:25], s[36:37], v[209:210]
	scratch_store_b64 off, v[24:25], off offset:308 ; 8-byte Folded Spill
	v_fma_f64 v[24:25], v[249:250], s[10:11], -v[24:25]
	s_delay_alu instid0(VALU_DEP_1)
	v_add_f64_e32 v[144:145], v[24:25], v[20:21]
	v_mul_f64_e32 v[20:21], s[10:11], v[251:252]
	v_mul_f64_e32 v[24:25], s[30:31], v[215:216]
	scratch_store_b64 off, v[20:21], off offset:332 ; 8-byte Folded Spill
	v_fma_f64 v[20:21], v[253:254], s[36:37], v[20:21]
	scratch_store_b64 off, v[24:25], off offset:356 ; 8-byte Folded Spill
	v_fma_f64 v[24:25], v[197:198], s[34:35], v[24:25]
	v_add_f64_e32 v[146:147], v[20:21], v[22:23]
	v_fma_f64 v[20:21], v[201:202], s[16:17], -v[26:27]
	v_mul_f64_e32 v[22:23], s[34:35], v[217:218]
	s_delay_alu instid0(VALU_DEP_2) | instskip(SKIP_2) | instid1(VALU_DEP_1)
	v_add_f64_e32 v[20:21], v[136:137], v[20:21]
	scratch_store_b64 off, v[22:23], off offset:324 ; 8-byte Folded Spill
	v_fma_f64 v[22:23], v[193:194], s[30:31], -v[22:23]
	v_add_f64_e32 v[20:21], v[22:23], v[20:21]
	v_fma_f64 v[22:23], v[219:220], s[18:19], v[213:214]
	s_delay_alu instid0(VALU_DEP_1) | instskip(NEXT) | instid1(VALU_DEP_1)
	v_add_f64_e32 v[22:23], v[138:139], v[22:23]
	v_add_f64_e32 v[22:23], v[24:25], v[22:23]
	v_mul_f64_e32 v[24:25], s[44:45], v[235:236]
	scratch_store_b64 off, v[24:25], off offset:340 ; 8-byte Folded Spill
	v_fma_f64 v[24:25], v[207:208], s[22:23], -v[24:25]
	s_delay_alu instid0(VALU_DEP_1) | instskip(SKIP_3) | instid1(VALU_DEP_1)
	v_add_f64_e32 v[20:21], v[24:25], v[20:21]
	v_mul_f64_e32 v[24:25], s[22:23], v[233:234]
	scratch_store_b64 off, v[24:25], off offset:388 ; 8-byte Folded Spill
	v_fma_f64 v[24:25], v[211:212], s[44:45], v[24:25]
	v_add_f64_e32 v[22:23], v[24:25], v[22:23]
	v_mul_f64_e32 v[24:25], s[36:37], v[247:248]
	scratch_store_b64 off, v[24:25], off offset:372 ; 8-byte Folded Spill
	v_fma_f64 v[24:25], v[223:224], s[10:11], -v[24:25]
	s_delay_alu instid0(VALU_DEP_1) | instskip(SKIP_3) | instid1(VALU_DEP_1)
	v_add_f64_e32 v[20:21], v[24:25], v[20:21]
	v_mul_f64_e32 v[24:25], s[10:11], v[245:246]
	scratch_store_b64 off, v[24:25], off offset:404 ; 8-byte Folded Spill
	v_fma_f64 v[24:25], v[227:228], s[36:37], v[24:25]
	;; [unrolled: 9-line block ×3, first 2 shown]
	v_add_f64_e32 v[22:23], v[24:25], v[22:23]
	v_mul_f64_e32 v[24:25], s[28:29], v[209:210]
	scratch_store_b64 off, v[24:25], off offset:348 ; 8-byte Folded Spill
	v_fma_f64 v[24:25], v[249:250], s[26:27], -v[24:25]
	s_delay_alu instid0(VALU_DEP_1)
	v_add_f64_e32 v[148:149], v[24:25], v[20:21]
	v_mul_f64_e32 v[20:21], s[26:27], v[251:252]
	v_mul_f64_e32 v[24:25], s[26:27], v[215:216]
	scratch_store_b64 off, v[20:21], off offset:412 ; 8-byte Folded Spill
	v_fma_f64 v[20:21], v[253:254], s[28:29], v[20:21]
	scratch_store_b64 off, v[24:25], off offset:436 ; 8-byte Folded Spill
	v_fma_f64 v[24:25], v[197:198], s[40:41], v[24:25]
	v_add_f64_e32 v[150:151], v[20:21], v[22:23]
	v_fma_f64 v[20:21], v[201:202], s[22:23], -v[28:29]
	v_mul_f64_e32 v[22:23], s[40:41], v[217:218]
	s_delay_alu instid0(VALU_DEP_2) | instskip(SKIP_2) | instid1(VALU_DEP_1)
	v_add_f64_e32 v[20:21], v[136:137], v[20:21]
	scratch_store_b64 off, v[22:23], off offset:364 ; 8-byte Folded Spill
	v_fma_f64 v[22:23], v[193:194], s[26:27], -v[22:23]
	v_add_f64_e32 v[20:21], v[22:23], v[20:21]
	v_fma_f64 v[22:23], v[219:220], s[24:25], v[30:31]
	s_delay_alu instid0(VALU_DEP_1) | instskip(NEXT) | instid1(VALU_DEP_1)
	v_add_f64_e32 v[22:23], v[138:139], v[22:23]
	v_add_f64_e32 v[22:23], v[24:25], v[22:23]
	v_mul_f64_e32 v[24:25], s[36:37], v[235:236]
	scratch_store_b64 off, v[24:25], off offset:396 ; 8-byte Folded Spill
	v_fma_f64 v[24:25], v[207:208], s[10:11], -v[24:25]
	s_delay_alu instid0(VALU_DEP_1) | instskip(SKIP_3) | instid1(VALU_DEP_1)
	v_add_f64_e32 v[20:21], v[24:25], v[20:21]
	v_mul_f64_e32 v[24:25], s[10:11], v[233:234]
	scratch_store_b64 off, v[24:25], off offset:452 ; 8-byte Folded Spill
	v_fma_f64 v[24:25], v[211:212], s[36:37], v[24:25]
	v_add_f64_e32 v[22:23], v[24:25], v[22:23]
	v_mul_f64_e32 v[24:25], s[18:19], v[247:248]
	scratch_store_b64 off, v[24:25], off offset:420 ; 8-byte Folded Spill
	v_fma_f64 v[24:25], v[223:224], s[16:17], -v[24:25]
	s_delay_alu instid0(VALU_DEP_1) | instskip(SKIP_3) | instid1(VALU_DEP_1)
	v_add_f64_e32 v[20:21], v[24:25], v[20:21]
	v_mul_f64_e32 v[24:25], s[16:17], v[245:246]
	scratch_store_b64 off, v[24:25], off offset:460 ; 8-byte Folded Spill
	v_fma_f64 v[24:25], v[227:228], s[18:19], v[24:25]
	;; [unrolled: 9-line block ×3, first 2 shown]
	v_add_f64_e32 v[22:23], v[24:25], v[22:23]
	v_mul_f64_e32 v[24:25], s[46:47], v[209:210]
	scratch_store_b64 off, v[24:25], off offset:492 ; 8-byte Folded Spill
	v_fma_f64 v[24:25], v[249:250], s[2:3], -v[24:25]
	global_wb scope:SCOPE_SE
	s_wait_storecnt 0x0
	s_barrier_signal -1
	s_barrier_wait -1
	global_inv scope:SCOPE_SE
	v_add_f64_e32 v[188:189], v[24:25], v[20:21]
	v_fma_f64 v[20:21], v[253:254], s[46:47], v[116:117]
	v_fma_f64 v[24:25], v[197:198], s[38:39], v[239:240]
	s_delay_alu instid0(VALU_DEP_2) | instskip(SKIP_2) | instid1(VALU_DEP_2)
	v_add_f64_e32 v[190:191], v[20:21], v[22:23]
	v_fma_f64 v[20:21], v[201:202], s[26:27], -v[32:33]
	v_fma_f64 v[22:23], v[193:194], s[16:17], -v[221:222]
	v_add_f64_e32 v[20:21], v[136:137], v[20:21]
	s_delay_alu instid0(VALU_DEP_1) | instskip(SKIP_1) | instid1(VALU_DEP_1)
	v_add_f64_e32 v[20:21], v[22:23], v[20:21]
	v_fma_f64 v[22:23], v[219:220], s[28:29], v[34:35]
	v_add_f64_e32 v[22:23], v[138:139], v[22:23]
	s_delay_alu instid0(VALU_DEP_1) | instskip(SKIP_1) | instid1(VALU_DEP_1)
	v_add_f64_e32 v[22:23], v[24:25], v[22:23]
	v_fma_f64 v[24:25], v[207:208], s[2:3], -v[225:226]
	v_add_f64_e32 v[20:21], v[24:25], v[20:21]
	v_fma_f64 v[24:25], v[211:212], s[14:15], v[243:244]
	s_delay_alu instid0(VALU_DEP_1) | instskip(SKIP_1) | instid1(VALU_DEP_1)
	v_add_f64_e32 v[22:23], v[24:25], v[22:23]
	v_fma_f64 v[24:25], v[223:224], s[30:31], -v[118:119]
	v_add_f64_e32 v[24:25], v[24:25], v[20:21]
	v_mul_f64_e32 v[20:21], s[30:31], v[245:246]
	s_delay_alu instid0(VALU_DEP_1) | instskip(NEXT) | instid1(VALU_DEP_1)
	v_fma_f64 v[184:185], v[227:228], s[42:43], v[20:21]
	v_add_f64_e32 v[184:185], v[184:185], v[22:23]
	v_fma_f64 v[22:23], v[237:238], s[10:11], -v[229:230]
	s_delay_alu instid0(VALU_DEP_1) | instskip(SKIP_1) | instid1(VALU_DEP_1)
	v_add_f64_e32 v[24:25], v[22:23], v[24:25]
	v_mul_f64_e32 v[22:23], s[10:11], v[199:200]
	v_fma_f64 v[186:187], v[241:242], s[36:37], v[22:23]
	s_delay_alu instid0(VALU_DEP_1) | instskip(SKIP_1) | instid1(VALU_DEP_1)
	v_add_f64_e32 v[186:187], v[186:187], v[184:185]
	v_fma_f64 v[184:185], v[249:250], s[22:23], -v[195:196]
	v_add_f64_e32 v[184:185], v[184:185], v[24:25]
	v_mul_f64_e32 v[24:25], s[22:23], v[251:252]
	s_delay_alu instid0(VALU_DEP_1) | instskip(NEXT) | instid1(VALU_DEP_1)
	v_fma_f64 v[36:37], v[253:254], s[24:25], v[24:25]
	v_add_f64_e32 v[186:187], v[36:37], v[186:187]
	s_and_saveexec_b32 s33, vcc_lo
	s_cbranch_execz .LBB0_21
; %bb.20:
	scratch_store_b64 off, v[38:39], off offset:500 ; 8-byte Folded Spill
	v_add_f64_e32 v[38:39], v[136:137], v[156:157]
	v_add_f64_e32 v[36:37], v[138:139], v[158:159]
	s_delay_alu instid0(VALU_DEP_2) | instskip(NEXT) | instid1(VALU_DEP_2)
	v_add_f64_e32 v[38:39], v[38:39], v[164:165]
	v_add_f64_e32 v[36:37], v[36:37], v[166:167]
	s_delay_alu instid0(VALU_DEP_2) | instskip(NEXT) | instid1(VALU_DEP_2)
	v_add_f64_e32 v[38:39], v[38:39], v[168:169]
	v_add_f64_e32 v[36:37], v[36:37], v[170:171]
	v_mul_f64_e32 v[170:171], s[38:39], v[253:254]
	v_mul_f64_e32 v[168:169], s[38:39], v[209:210]
	s_delay_alu instid0(VALU_DEP_4) | instskip(NEXT) | instid1(VALU_DEP_4)
	v_add_f64_e32 v[38:39], v[38:39], v[180:181]
	v_add_f64_e32 v[36:37], v[36:37], v[182:183]
	s_delay_alu instid0(VALU_DEP_2) | instskip(NEXT) | instid1(VALU_DEP_2)
	v_add_f64_e32 v[38:39], v[38:39], v[176:177]
	v_add_f64_e32 v[36:37], v[36:37], v[178:179]
	s_delay_alu instid0(VALU_DEP_2) | instskip(NEXT) | instid1(VALU_DEP_2)
	;; [unrolled: 3-line block ×4, first 2 shown]
	v_add_f64_e32 v[38:39], v[38:39], v[152:153]
	v_add_f64_e32 v[36:37], v[36:37], v[154:155]
	v_mul_f64_e32 v[152:153], s[10:11], v[201:202]
	scratch_load_b64 v[154:155], off, off offset:172 th:TH_LOAD_LU ; 8-byte Folded Reload
	v_add_f64_e32 v[38:39], v[38:39], v[132:133]
	v_add_f64_e32 v[36:37], v[36:37], v[134:135]
	scratch_load_b64 v[132:133], off, off offset:196 th:TH_LOAD_LU ; 8-byte Folded Reload
	v_add_f64_e32 v[38:39], v[38:39], v[128:129]
	scratch_load_b64 v[128:129], off, off offset:484 th:TH_LOAD_LU ; 8-byte Folded Reload
	;; [unrolled: 2-line block ×3, first 2 shown]
	v_add_f64_e32 v[38:39], v[38:39], v[124:125]
	v_mul_f64_e32 v[124:125], s[28:29], v[219:220]
	v_add_f64_e32 v[36:37], v[36:37], v[126:127]
	v_mul_f64_e32 v[126:127], s[16:17], v[201:202]
	s_delay_alu instid0(VALU_DEP_4) | instskip(NEXT) | instid1(VALU_DEP_4)
	v_add_f64_e32 v[120:121], v[38:39], v[120:121]
	v_add_f64_e64 v[34:35], v[34:35], -v[124:125]
	v_mul_f64_e32 v[124:125], s[26:27], v[201:202]
	v_add_f64_e32 v[122:123], v[36:37], v[122:123]
	v_mul_f64_e32 v[36:37], s[34:35], v[219:220]
	v_add_f64_e32 v[26:27], v[126:127], v[26:27]
	;; [unrolled: 2-line block ×3, first 2 shown]
	v_add_f64_e32 v[32:33], v[124:125], v[32:33]
	v_mul_f64_e32 v[124:125], s[24:25], v[219:220]
	v_fma_f64 v[38:39], v[231:232], s[30:31], v[36:37]
	v_add_f64_e32 v[162:163], v[136:137], v[26:27]
	v_fma_f64 v[36:37], v[231:232], s[30:31], -v[36:37]
	s_delay_alu instid0(VALU_DEP_4) | instskip(SKIP_2) | instid1(VALU_DEP_4)
	v_add_f64_e64 v[30:31], v[30:31], -v[124:125]
	v_mul_f64_e32 v[124:125], s[22:23], v[201:202]
	v_add_f64_e32 v[38:39], v[138:139], v[38:39]
	v_add_f64_e32 v[36:37], v[138:139], v[36:37]
	s_delay_alu instid0(VALU_DEP_4) | instskip(SKIP_3) | instid1(VALU_DEP_3)
	v_add_f64_e32 v[156:157], v[138:139], v[30:31]
	v_mul_f64_e32 v[30:31], s[36:37], v[197:198]
	v_add_f64_e32 v[28:29], v[124:125], v[28:29]
	v_mul_f64_e32 v[124:125], s[18:19], v[219:220]
	v_fma_f64 v[26:27], v[215:216], s[10:11], v[30:31]
	s_delay_alu instid0(VALU_DEP_3) | instskip(NEXT) | instid1(VALU_DEP_3)
	v_add_f64_e32 v[158:159], v[136:137], v[28:29]
	v_add_f64_e64 v[124:125], v[213:214], -v[124:125]
	v_fma_f64 v[30:31], v[215:216], s[10:11], -v[30:31]
	s_wait_loadcnt 0x3
	v_add_f64_e32 v[152:153], v[152:153], v[154:155]
	v_add_f64_e32 v[154:155], v[136:137], v[32:33]
	v_mul_f64_e32 v[32:33], s[36:37], v[217:218]
	v_add_f64_e32 v[26:27], v[26:27], v[38:39]
	v_mul_f64_e32 v[38:39], s[28:29], v[211:212]
	v_add_f64_e32 v[160:161], v[138:139], v[124:125]
	v_add_f64_e32 v[30:31], v[30:31], v[36:37]
	v_fma_f64 v[28:29], v[193:194], s[10:11], -v[32:33]
	v_fma_f64 v[32:33], v[193:194], s[10:11], v[32:33]
	s_wait_loadcnt 0x1
	v_add_f64_e64 v[126:127], v[128:129], -v[126:127]
	v_mul_f64_e32 v[128:129], s[2:3], v[201:202]
	s_delay_alu instid0(VALU_DEP_2) | instskip(SKIP_1) | instid1(VALU_DEP_2)
	v_add_f64_e32 v[124:125], v[138:139], v[126:127]
	s_wait_loadcnt 0x0
	v_add_f64_e32 v[128:129], v[128:129], v[130:131]
	v_mul_f64_e32 v[130:131], s[20:21], v[219:220]
	s_delay_alu instid0(VALU_DEP_2) | instskip(NEXT) | instid1(VALU_DEP_2)
	v_add_f64_e32 v[126:127], v[136:137], v[128:129]
	v_add_f64_e64 v[130:131], v[132:133], -v[130:131]
	v_mul_f64_e32 v[132:133], s[34:35], v[205:206]
	v_fma_f64 v[128:129], v[233:234], s[26:27], v[38:39]
	v_fma_f64 v[38:39], v[233:234], s[26:27], -v[38:39]
	s_delay_alu instid0(VALU_DEP_4) | instskip(NEXT) | instid1(VALU_DEP_4)
	v_add_f64_e32 v[138:139], v[138:139], v[130:131]
	v_fma_f64 v[134:135], v[201:202], s[30:31], -v[132:133]
	s_delay_alu instid0(VALU_DEP_4)
	v_add_f64_e32 v[26:27], v[128:129], v[26:27]
	v_mul_f64_e32 v[128:129], s[28:29], v[235:236]
	v_fma_f64 v[132:133], v[201:202], s[30:31], v[132:133]
	v_add_f64_e32 v[30:31], v[38:39], v[30:31]
	v_fma_f64 v[38:39], v[249:250], s[16:17], v[168:169]
	v_add_f64_e32 v[134:135], v[136:137], v[134:135]
	v_fma_f64 v[130:131], v[207:208], s[26:27], -v[128:129]
	v_add_f64_e32 v[132:133], v[136:137], v[132:133]
	v_add_f64_e32 v[136:137], v[136:137], v[152:153]
	v_fma_f64 v[36:37], v[207:208], s[26:27], v[128:129]
	scratch_load_b64 v[128:129], off, off offset:252 th:TH_LOAD_LU ; 8-byte Folded Reload
	v_add_f64_e32 v[28:29], v[28:29], v[134:135]
	v_add_f64_e32 v[32:33], v[32:33], v[132:133]
	s_delay_alu instid0(VALU_DEP_2) | instskip(SKIP_1) | instid1(VALU_DEP_3)
	v_add_f64_e32 v[28:29], v[130:131], v[28:29]
	v_mul_f64_e32 v[130:131], s[46:47], v[227:228]
	v_add_f64_e32 v[32:33], v[36:37], v[32:33]
	s_delay_alu instid0(VALU_DEP_2) | instskip(SKIP_1) | instid1(VALU_DEP_2)
	v_fma_f64 v[134:135], v[245:246], s[2:3], v[130:131]
	v_fma_f64 v[130:131], v[245:246], s[2:3], -v[130:131]
	v_add_f64_e32 v[26:27], v[134:135], v[26:27]
	v_mul_f64_e32 v[134:135], s[46:47], v[247:248]
	s_delay_alu instid0(VALU_DEP_3)
	v_add_f64_e32 v[30:31], v[130:131], v[30:31]
	scratch_load_b64 v[130:131], off, off offset:284 th:TH_LOAD_LU ; 8-byte Folded Reload
	v_fma_f64 v[152:153], v[223:224], s[2:3], -v[134:135]
	v_fma_f64 v[36:37], v[223:224], s[2:3], v[134:135]
	scratch_load_b64 v[134:135], off, off offset:300 th:TH_LOAD_LU ; 8-byte Folded Reload
	v_add_f64_e32 v[28:29], v[152:153], v[28:29]
	v_mul_f64_e32 v[152:153], s[24:25], v[241:242]
	v_add_f64_e32 v[32:33], v[36:37], v[32:33]
	s_delay_alu instid0(VALU_DEP_2) | instskip(SKIP_1) | instid1(VALU_DEP_2)
	v_fma_f64 v[164:165], v[199:200], s[22:23], v[152:153]
	v_fma_f64 v[152:153], v[199:200], s[22:23], -v[152:153]
	v_add_f64_e32 v[26:27], v[164:165], v[26:27]
	v_mul_f64_e32 v[164:165], s[24:25], v[203:204]
	s_delay_alu instid0(VALU_DEP_3)
	v_add_f64_e32 v[30:31], v[152:153], v[30:31]
	s_clause 0x1
	scratch_load_b64 v[152:153], off, off offset:276 th:TH_LOAD_LU
	scratch_load_b64 v[132:133], off, off offset:260 th:TH_LOAD_LU
	v_fma_f64 v[166:167], v[237:238], s[22:23], -v[164:165]
	v_fma_f64 v[36:37], v[237:238], s[22:23], v[164:165]
	scratch_load_b64 v[164:165], off, off offset:316 th:TH_LOAD_LU ; 8-byte Folded Reload
	v_add_f64_e32 v[166:167], v[166:167], v[28:29]
	v_fma_f64 v[28:29], v[251:252], s[16:17], v[170:171]
	v_add_f64_e32 v[36:37], v[36:37], v[32:33]
	s_delay_alu instid0(VALU_DEP_2) | instskip(SKIP_1) | instid1(VALU_DEP_1)
	v_add_f64_e32 v[28:29], v[28:29], v[26:27]
	v_fma_f64 v[26:27], v[249:250], s[16:17], -v[168:169]
	v_add_f64_e32 v[26:27], v[26:27], v[166:167]
	v_fma_f64 v[166:167], v[251:252], s[16:17], -v[170:171]
	s_delay_alu instid0(VALU_DEP_1) | instskip(SKIP_4) | instid1(VALU_DEP_1)
	v_add_f64_e32 v[32:33], v[166:167], v[30:31]
	v_add_f64_e32 v[30:31], v[38:39], v[36:37]
	scratch_load_b64 v[38:39], off, off offset:268 th:TH_LOAD_LU ; 8-byte Folded Reload
	v_mul_f64_e32 v[36:37], s[24:25], v[197:198]
	s_wait_loadcnt 0x0
	v_add_f64_e64 v[36:37], v[38:39], -v[36:37]
	v_mul_f64_e32 v[38:39], s[22:23], v[193:194]
	s_delay_alu instid0(VALU_DEP_2) | instskip(NEXT) | instid1(VALU_DEP_2)
	v_add_f64_e32 v[36:37], v[36:37], v[124:125]
	v_add_f64_e32 v[38:39], v[38:39], v[128:129]
	v_mul_f64_e32 v[128:129], s[34:35], v[211:212]
	v_mul_f64_e32 v[124:125], s[16:17], v[237:238]
	s_delay_alu instid0(VALU_DEP_3) | instskip(SKIP_3) | instid1(VALU_DEP_2)
	v_add_f64_e32 v[38:39], v[38:39], v[126:127]
	scratch_load_b64 v[126:127], off, off offset:292 th:TH_LOAD_LU ; 8-byte Folded Reload
	v_add_f64_e64 v[128:129], v[130:131], -v[128:129]
	v_mul_f64_e32 v[130:131], s[30:31], v[207:208]
	v_add_f64_e32 v[36:37], v[128:129], v[36:37]
	s_delay_alu instid0(VALU_DEP_2)
	v_add_f64_e32 v[130:131], v[130:131], v[132:133]
	v_mul_f64_e32 v[132:133], s[40:41], v[227:228]
	scratch_load_b64 v[128:129], off, off offset:332 th:TH_LOAD_LU ; 8-byte Folded Reload
	v_add_f64_e32 v[38:39], v[130:131], v[38:39]
	v_add_f64_e64 v[132:133], v[134:135], -v[132:133]
	v_mul_f64_e32 v[134:135], s[26:27], v[223:224]
	s_delay_alu instid0(VALU_DEP_2) | instskip(NEXT) | instid1(VALU_DEP_2)
	v_add_f64_e32 v[36:37], v[132:133], v[36:37]
	v_add_f64_e32 v[134:135], v[134:135], v[152:153]
	v_mul_f64_e32 v[152:153], s[38:39], v[241:242]
	s_delay_alu instid0(VALU_DEP_2) | instskip(NEXT) | instid1(VALU_DEP_2)
	v_add_f64_e32 v[38:39], v[134:135], v[38:39]
	v_add_f64_e64 v[152:153], v[164:165], -v[152:153]
	s_clause 0x1
	scratch_load_b64 v[134:135], off, off offset:404 th:TH_LOAD_LU
	scratch_load_b64 v[164:165], off, off offset:428 th:TH_LOAD_LU
	v_add_f64_e32 v[36:37], v[152:153], v[36:37]
	s_clause 0x1
	scratch_load_b64 v[152:153], off, off offset:372 th:TH_LOAD_LU
	scratch_load_b64 v[130:131], off, off offset:308 th:TH_LOAD_LU
	s_wait_loadcnt 0x5
	v_add_f64_e32 v[124:125], v[124:125], v[126:127]
	v_mul_f64_e32 v[126:127], s[36:37], v[253:254]
	s_delay_alu instid0(VALU_DEP_2) | instskip(SKIP_1) | instid1(VALU_DEP_2)
	v_add_f64_e32 v[38:39], v[124:125], v[38:39]
	s_wait_loadcnt 0x4
	v_add_f64_e64 v[126:127], v[128:129], -v[126:127]
	v_mul_f64_e32 v[128:129], s[10:11], v[249:250]
	s_delay_alu instid0(VALU_DEP_2) | instskip(SKIP_2) | instid1(VALU_DEP_3)
	v_add_f64_e32 v[126:127], v[126:127], v[36:37]
	v_mul_f64_e32 v[36:37], s[34:35], v[197:198]
	s_wait_loadcnt 0x0
	v_add_f64_e32 v[128:129], v[128:129], v[130:131]
	s_clause 0x1
	scratch_load_b64 v[130:131], off, off offset:388 th:TH_LOAD_LU
	scratch_load_b64 v[132:133], off, off offset:340 th:TH_LOAD_LU
	v_add_f64_e32 v[124:125], v[128:129], v[38:39]
	s_clause 0x1
	scratch_load_b64 v[38:39], off, off offset:356 th:TH_LOAD_LU
	scratch_load_b64 v[128:129], off, off offset:324 th:TH_LOAD_LU
	s_wait_loadcnt 0x1
	v_add_f64_e64 v[36:37], v[38:39], -v[36:37]
	v_mul_f64_e32 v[38:39], s[30:31], v[193:194]
	s_delay_alu instid0(VALU_DEP_2) | instskip(SKIP_1) | instid1(VALU_DEP_2)
	v_add_f64_e32 v[36:37], v[36:37], v[160:161]
	s_wait_loadcnt 0x0
	v_add_f64_e32 v[38:39], v[38:39], v[128:129]
	v_mul_f64_e32 v[128:129], s[44:45], v[211:212]
	v_mul_f64_e32 v[160:161], s[2:3], v[237:238]
	s_delay_alu instid0(VALU_DEP_3) | instskip(NEXT) | instid1(VALU_DEP_3)
	v_add_f64_e32 v[38:39], v[38:39], v[162:163]
	v_add_f64_e64 v[128:129], v[130:131], -v[128:129]
	v_mul_f64_e32 v[130:131], s[22:23], v[207:208]
	scratch_load_b64 v[162:163], off, off offset:380 th:TH_LOAD_LU ; 8-byte Folded Reload
	v_add_f64_e32 v[36:37], v[128:129], v[36:37]
	v_add_f64_e32 v[130:131], v[130:131], v[132:133]
	v_mul_f64_e32 v[132:133], s[36:37], v[227:228]
	v_mul_f64_e32 v[128:129], s[28:29], v[253:254]
	s_delay_alu instid0(VALU_DEP_3) | instskip(SKIP_3) | instid1(VALU_DEP_2)
	v_add_f64_e32 v[38:39], v[130:131], v[38:39]
	scratch_load_b64 v[130:131], off, off offset:412 th:TH_LOAD_LU ; 8-byte Folded Reload
	v_add_f64_e64 v[132:133], v[134:135], -v[132:133]
	v_mul_f64_e32 v[134:135], s[10:11], v[223:224]
	v_add_f64_e32 v[36:37], v[132:133], v[36:37]
	scratch_load_b64 v[132:133], off, off offset:348 th:TH_LOAD_LU ; 8-byte Folded Reload
	v_add_f64_e32 v[134:135], v[134:135], v[152:153]
	v_mul_f64_e32 v[152:153], s[14:15], v[241:242]
	s_delay_alu instid0(VALU_DEP_2) | instskip(NEXT) | instid1(VALU_DEP_2)
	v_add_f64_e32 v[38:39], v[134:135], v[38:39]
	v_add_f64_e64 v[152:153], v[164:165], -v[152:153]
	s_clause 0x1
	scratch_load_b64 v[134:135], off, off offset:452 th:TH_LOAD_LU
	scratch_load_b64 v[164:165], off, off offset:476 th:TH_LOAD_LU
	v_add_f64_e32 v[36:37], v[152:153], v[36:37]
	scratch_load_b64 v[152:153], off, off offset:396 th:TH_LOAD_LU ; 8-byte Folded Reload
	s_wait_loadcnt 0x5
	v_add_f64_e32 v[160:161], v[160:161], v[162:163]
	scratch_load_b64 v[162:163], off, off offset:420 th:TH_LOAD_LU ; 8-byte Folded Reload
	v_add_f64_e32 v[38:39], v[160:161], v[38:39]
	scratch_load_b64 v[160:161], off, off offset:460 th:TH_LOAD_LU ; 8-byte Folded Reload
	s_wait_loadcnt 0x6
	v_add_f64_e64 v[128:129], v[130:131], -v[128:129]
	v_mul_f64_e32 v[130:131], s[26:27], v[249:250]
	s_wait_loadcnt 0x5
	s_delay_alu instid0(VALU_DEP_1) | instskip(NEXT) | instid1(VALU_DEP_3)
	v_add_f64_e32 v[132:133], v[130:131], v[132:133]
	v_add_f64_e32 v[130:131], v[128:129], v[36:37]
	v_mul_f64_e32 v[36:37], s[40:41], v[197:198]
	s_delay_alu instid0(VALU_DEP_3)
	v_add_f64_e32 v[128:129], v[132:133], v[38:39]
	s_clause 0x1
	scratch_load_b64 v[38:39], off, off offset:436 th:TH_LOAD_LU
	scratch_load_b64 v[132:133], off, off offset:364 th:TH_LOAD_LU
	s_wait_loadcnt 0x1
	v_add_f64_e64 v[36:37], v[38:39], -v[36:37]
	v_mul_f64_e32 v[38:39], s[26:27], v[193:194]
	s_delay_alu instid0(VALU_DEP_2) | instskip(SKIP_1) | instid1(VALU_DEP_2)
	v_add_f64_e32 v[36:37], v[36:37], v[156:157]
	s_wait_loadcnt 0x0
	v_add_f64_e32 v[38:39], v[38:39], v[132:133]
	v_mul_f64_e32 v[132:133], s[36:37], v[211:212]
	v_mul_f64_e32 v[156:157], s[30:31], v[237:238]
	s_delay_alu instid0(VALU_DEP_3) | instskip(SKIP_3) | instid1(VALU_DEP_2)
	v_add_f64_e32 v[38:39], v[38:39], v[158:159]
	scratch_load_b64 v[158:159], off, off offset:444 th:TH_LOAD_LU ; 8-byte Folded Reload
	v_add_f64_e64 v[132:133], v[134:135], -v[132:133]
	v_mul_f64_e32 v[134:135], s[10:11], v[207:208]
	v_add_f64_e32 v[36:37], v[132:133], v[36:37]
	s_delay_alu instid0(VALU_DEP_2) | instskip(SKIP_2) | instid1(VALU_DEP_3)
	v_add_f64_e32 v[134:135], v[134:135], v[152:153]
	v_mul_f64_e32 v[152:153], s[18:19], v[227:228]
	v_mul_f64_e32 v[132:133], s[46:47], v[253:254]
	v_add_f64_e32 v[38:39], v[134:135], v[38:39]
	scratch_load_b64 v[134:135], off, off offset:492 th:TH_LOAD_LU ; 8-byte Folded Reload
	v_add_f64_e64 v[152:153], v[160:161], -v[152:153]
	v_mul_f64_e32 v[160:161], s[16:17], v[223:224]
	v_add_f64_e64 v[116:117], v[116:117], -v[132:133]
	v_mul_f64_e32 v[132:133], s[2:3], v[249:250]
	s_delay_alu instid0(VALU_DEP_4) | instskip(NEXT) | instid1(VALU_DEP_4)
	v_add_f64_e32 v[36:37], v[152:153], v[36:37]
	v_add_f64_e32 v[160:161], v[160:161], v[162:163]
	v_mul_f64_e32 v[162:163], s[42:43], v[241:242]
	v_mul_f64_e32 v[152:153], s[2:3], v[207:208]
	s_delay_alu instid0(VALU_DEP_3) | instskip(NEXT) | instid1(VALU_DEP_3)
	v_add_f64_e32 v[38:39], v[160:161], v[38:39]
	v_add_f64_e64 v[162:163], v[164:165], -v[162:163]
	s_delay_alu instid0(VALU_DEP_3) | instskip(NEXT) | instid1(VALU_DEP_2)
	v_add_f64_e32 v[152:153], v[152:153], v[225:226]
	v_add_f64_e32 v[36:37], v[162:163], v[36:37]
	s_wait_loadcnt 0x1
	v_add_f64_e32 v[156:157], v[156:157], v[158:159]
	s_delay_alu instid0(VALU_DEP_1) | instskip(SKIP_1) | instid1(VALU_DEP_1)
	v_add_f64_e32 v[38:39], v[156:157], v[38:39]
	v_mul_f64_e32 v[156:157], s[42:43], v[227:228]
	v_add_f64_e64 v[20:21], v[20:21], -v[156:157]
	v_mul_f64_e32 v[156:157], s[30:31], v[223:224]
	s_wait_loadcnt 0x0
	v_add_f64_e32 v[132:133], v[132:133], v[134:135]
	v_add_f64_e32 v[134:135], v[116:117], v[36:37]
	v_mul_f64_e32 v[36:37], s[38:39], v[197:198]
	v_mul_f64_e32 v[116:117], s[14:15], v[211:212]
	v_add_f64_e32 v[118:119], v[156:157], v[118:119]
	v_add_f64_e32 v[132:133], v[132:133], v[38:39]
	v_mul_f64_e32 v[38:39], s[16:17], v[193:194]
	v_add_f64_e64 v[36:37], v[239:240], -v[36:37]
	v_add_f64_e64 v[116:117], v[243:244], -v[116:117]
	v_mul_f64_e32 v[156:157], s[36:37], v[241:242]
	s_delay_alu instid0(VALU_DEP_4) | instskip(NEXT) | instid1(VALU_DEP_4)
	v_add_f64_e32 v[38:39], v[38:39], v[221:222]
	v_add_f64_e32 v[34:35], v[36:37], v[34:35]
	s_delay_alu instid0(VALU_DEP_3) | instskip(NEXT) | instid1(VALU_DEP_3)
	v_add_f64_e64 v[22:23], v[22:23], -v[156:157]
	v_add_f64_e32 v[36:37], v[38:39], v[154:155]
	v_mul_f64_e32 v[38:39], s[10:11], v[237:238]
	s_delay_alu instid0(VALU_DEP_4)
	v_add_f64_e32 v[34:35], v[116:117], v[34:35]
	v_mul_f64_e32 v[116:117], s[24:25], v[253:254]
	scratch_load_b64 v[154:155], off, off offset:228 th:TH_LOAD_LU ; 8-byte Folded Reload
	v_add_f64_e32 v[36:37], v[152:153], v[36:37]
	v_add_f64_e32 v[38:39], v[38:39], v[229:230]
	;; [unrolled: 1-line block ×3, first 2 shown]
	v_add_f64_e64 v[24:25], v[24:25], -v[116:117]
	s_clause 0x1
	scratch_load_b64 v[152:153], off, off offset:204 th:TH_LOAD_LU
	scratch_load_b64 v[116:117], off, off offset:180 th:TH_LOAD_LU
	v_add_f64_e32 v[34:35], v[118:119], v[36:37]
	v_mul_f64_e32 v[36:37], s[22:23], v[249:250]
	v_add_f64_e32 v[20:21], v[22:23], v[20:21]
	scratch_load_b64 v[118:119], off, off offset:212 th:TH_LOAD_LU ; 8-byte Folded Reload
	v_add_f64_e32 v[34:35], v[38:39], v[34:35]
	v_add_f64_e32 v[36:37], v[36:37], v[195:196]
	;; [unrolled: 1-line block ×3, first 2 shown]
	scratch_load_b64 v[38:39], off, off offset:188 th:TH_LOAD_LU ; 8-byte Folded Reload
	v_mul_f64_e32 v[24:25], s[14:15], v[197:198]
	v_add_f64_e32 v[20:21], v[36:37], v[34:35]
	s_clause 0x1
	scratch_load_b64 v[34:35], off, off offset:164 th:TH_LOAD_LU
	scratch_load_b64 v[36:37], off, off offset:500 th:TH_LOAD_LU
	s_wait_loadcnt 0x1
	v_add_f64_e64 v[24:25], v[34:35], -v[24:25]
	v_mul_f64_e32 v[34:35], s[2:3], v[193:194]
	s_delay_alu instid0(VALU_DEP_2) | instskip(SKIP_1) | instid1(VALU_DEP_2)
	v_add_f64_e32 v[24:25], v[24:25], v[138:139]
	s_wait_loadcnt 0x0
	v_add_f64_e32 v[34:35], v[34:35], v[36:37]
	v_mul_f64_e32 v[36:37], s[18:19], v[211:212]
	scratch_load_b64 v[138:139], off, off offset:220 th:TH_LOAD_LU ; 8-byte Folded Reload
	v_add_f64_e32 v[34:35], v[34:35], v[136:137]
	v_add_f64_e64 v[36:37], v[38:39], -v[36:37]
	v_mul_f64_e32 v[38:39], s[16:17], v[207:208]
	v_mul_f64_e32 v[136:137], s[26:27], v[237:238]
	s_delay_alu instid0(VALU_DEP_3) | instskip(NEXT) | instid1(VALU_DEP_3)
	v_add_f64_e32 v[24:25], v[36:37], v[24:25]
	v_add_f64_e32 v[38:39], v[38:39], v[116:117]
	v_mul_f64_e32 v[116:117], s[24:25], v[227:228]
	v_mul_f64_e32 v[36:37], s[34:35], v[253:254]
	s_delay_alu instid0(VALU_DEP_3) | instskip(SKIP_3) | instid1(VALU_DEP_2)
	v_add_f64_e32 v[34:35], v[38:39], v[34:35]
	scratch_load_b64 v[38:39], off, off offset:244 th:TH_LOAD_LU ; 8-byte Folded Reload
	v_add_f64_e64 v[116:117], v[118:119], -v[116:117]
	v_mul_f64_e32 v[118:119], s[22:23], v[223:224]
	v_add_f64_e32 v[24:25], v[116:117], v[24:25]
	scratch_load_b64 v[116:117], off, off offset:236 th:TH_LOAD_LU ; 8-byte Folded Reload
	v_add_f64_e32 v[118:119], v[118:119], v[152:153]
	v_mul_f64_e32 v[152:153], s[28:29], v[241:242]
	s_delay_alu instid0(VALU_DEP_2) | instskip(NEXT) | instid1(VALU_DEP_2)
	v_add_f64_e32 v[34:35], v[118:119], v[34:35]
	v_add_f64_e64 v[152:153], v[154:155], -v[152:153]
	s_delay_alu instid0(VALU_DEP_1) | instskip(SKIP_3) | instid1(VALU_DEP_2)
	v_add_f64_e32 v[24:25], v[152:153], v[24:25]
	s_wait_loadcnt 0x1
	v_add_f64_e64 v[36:37], v[38:39], -v[36:37]
	v_mul_f64_e32 v[38:39], s[30:31], v[249:250]
	v_add_f64_e32 v[118:119], v[36:37], v[24:25]
	scratch_load_b32 v24, off, off offset:28 th:TH_LOAD_LU ; 4-byte Folded Reload
	v_add_f64_e32 v[136:137], v[136:137], v[138:139]
	s_wait_loadcnt 0x1
	v_add_f64_e32 v[38:39], v[38:39], v[116:117]
	s_delay_alu instid0(VALU_DEP_2) | instskip(NEXT) | instid1(VALU_DEP_1)
	v_add_f64_e32 v[34:35], v[136:137], v[34:35]
	v_add_f64_e32 v[116:117], v[38:39], v[34:35]
	s_wait_loadcnt 0x0
	v_and_b32_e32 v24, 0xffff, v24
	s_delay_alu instid0(VALU_DEP_1)
	v_lshlrev_b32_e32 v24, 4, v24
	ds_store_b128 v24, v[124:127] offset:32
	ds_store_b128 v24, v[128:131] offset:48
	ds_store_b128 v24, v[132:135] offset:64
	ds_store_b128 v24, v[184:187] offset:128
	ds_store_b128 v24, v[188:191] offset:144
	ds_store_b128 v24, v[148:151] offset:160
	ds_store_b128 v24, v[144:147] offset:176
	ds_store_b128 v24, v[20:23] offset:80
	ds_store_b128 v24, v[30:33] offset:96
	ds_store_b128 v24, v[26:29] offset:112
	ds_store_b128 v24, v[116:119] offset:16
	ds_store_b128 v24, v[120:123]
	ds_store_b128 v24, v[140:143] offset:192
.LBB0_21:
	s_or_b32 exec_lo, exec_lo, s33
	global_wb scope:SCOPE_SE
	s_wait_storecnt_dscnt 0x0
	s_barrier_signal -1
	s_barrier_wait -1
	global_inv scope:SCOPE_SE
	ds_load_b128 v[124:127], v255
	ds_load_b128 v[128:131], v255 offset:2912
	ds_load_b128 v[152:155], v255 offset:13104
	;; [unrolled: 1-line block ×7, first 2 shown]
	s_and_saveexec_b32 s2, s0
	s_cbranch_execz .LBB0_23
; %bb.22:
	ds_load_b128 v[184:187], v255 offset:11648
	ds_load_b128 v[188:191], v255 offset:24752
.LBB0_23:
	s_wait_alu 0xfffe
	s_or_b32 exec_lo, exec_lo, s2
	s_wait_dscnt 0x5
	v_mul_f64_e32 v[20:21], v[10:11], v[154:155]
	v_mul_f64_e32 v[10:11], v[10:11], v[152:153]
	s_wait_dscnt 0x4
	v_mul_f64_e32 v[22:23], v[14:15], v[138:139]
	v_mul_f64_e32 v[14:15], v[14:15], v[136:137]
	s_wait_dscnt 0x1
	v_mul_f64_e32 v[24:25], v[6:7], v[162:163]
	s_wait_dscnt 0x0
	v_mul_f64_e32 v[26:27], v[18:19], v[158:159]
	global_wb scope:SCOPE_SE
	s_barrier_signal -1
	s_barrier_wait -1
	global_inv scope:SCOPE_SE
	v_mul_f64_e32 v[6:7], v[6:7], v[160:161]
	v_mul_f64_e32 v[18:19], v[18:19], v[156:157]
	v_fma_f64 v[20:21], v[8:9], v[152:153], v[20:21]
	v_fma_f64 v[8:9], v[8:9], v[154:155], -v[10:11]
	v_fma_f64 v[10:11], v[12:13], v[136:137], v[22:23]
	v_fma_f64 v[12:13], v[12:13], v[138:139], -v[14:15]
	v_fma_f64 v[14:15], v[4:5], v[160:161], v[24:25]
	v_fma_f64 v[24:25], v[16:17], v[156:157], v[26:27]
	v_mul_f64_e32 v[26:27], v[2:3], v[190:191]
	v_mul_f64_e32 v[2:3], v[2:3], v[188:189]
	v_fma_f64 v[22:23], v[4:5], v[162:163], -v[6:7]
	v_fma_f64 v[18:19], v[16:17], v[158:159], -v[18:19]
	v_add_f64_e64 v[4:5], v[124:125], -v[20:21]
	v_add_f64_e64 v[6:7], v[126:127], -v[8:9]
	;; [unrolled: 1-line block ×6, first 2 shown]
	v_fma_f64 v[36:37], v[0:1], v[188:189], v[26:27]
	v_fma_f64 v[2:3], v[0:1], v[190:191], -v[2:3]
	v_add_f64_e64 v[14:15], v[134:135], -v[22:23]
	v_add_f64_e64 v[18:19], v[122:123], -v[18:19]
	v_fma_f64 v[20:21], v[124:125], 2.0, -v[4:5]
	v_fma_f64 v[22:23], v[126:127], 2.0, -v[6:7]
	;; [unrolled: 1-line block ×6, first 2 shown]
	v_add_f64_e64 v[0:1], v[184:185], -v[36:37]
	scratch_load_b32 v36, off, off offset:48 th:TH_LOAD_LU ; 4-byte Folded Reload
	v_add_f64_e64 v[2:3], v[186:187], -v[2:3]
	s_wait_loadcnt 0x0
	ds_store_b128 v36, v[20:23]
	ds_store_b128 v36, v[4:7] offset:208
	scratch_load_b32 v4, off, off offset:64 th:TH_LOAD_LU ; 4-byte Folded Reload
	v_fma_f64 v[30:31], v[134:135], 2.0, -v[14:15]
	v_fma_f64 v[34:35], v[122:123], 2.0, -v[18:19]
	s_wait_loadcnt 0x0
	ds_store_b128 v4, v[24:27]
	ds_store_b128 v4, v[8:11] offset:208
	scratch_load_b32 v4, off, off offset:56 th:TH_LOAD_LU ; 4-byte Folded Reload
	s_wait_loadcnt 0x0
	ds_store_b128 v4, v[28:31]
	ds_store_b128 v4, v[12:15] offset:208
	scratch_load_b32 v4, off, off offset:40 th:TH_LOAD_LU ; 4-byte Folded Reload
	s_wait_loadcnt 0x0
	ds_store_b128 v4, v[32:35]
	ds_store_b128 v4, v[16:19] offset:208
	s_and_saveexec_b32 s2, s0
	s_cbranch_execz .LBB0_25
; %bb.24:
	scratch_load_b32 v8, off, off offset:32 th:TH_LOAD_LU ; 4-byte Folded Reload
	v_fma_f64 v[6:7], v[186:187], 2.0, -v[2:3]
	v_fma_f64 v[4:5], v[184:185], 2.0, -v[0:1]
	s_wait_loadcnt 0x0
	v_and_b32_e32 v8, 0xffff, v8
	s_delay_alu instid0(VALU_DEP_1)
	v_lshlrev_b32_e32 v8, 4, v8
	ds_store_b128 v8, v[4:7]
	ds_store_b128 v8, v[0:3] offset:208
.LBB0_25:
	s_wait_alu 0xfffe
	s_or_b32 exec_lo, exec_lo, s2
	global_wb scope:SCOPE_SE
	s_wait_dscnt 0x0
	s_barrier_signal -1
	s_barrier_wait -1
	global_inv scope:SCOPE_SE
	ds_load_b128 v[4:7], v255 offset:8736
	ds_load_b128 v[8:11], v255 offset:17472
	ds_load_b128 v[12:15], v255 offset:11648
	ds_load_b128 v[16:19], v255 offset:20384
	ds_load_b128 v[20:23], v255 offset:14560
	ds_load_b128 v[24:27], v255 offset:23296
	ds_load_b128 v[28:31], v255 offset:5824
	s_mov_b32 s2, 0xe8584caa
	s_mov_b32 s3, 0xbfebb67a
	s_mov_b32 s11, 0x3febb67a
	s_wait_alu 0xfffe
	s_mov_b32 s10, s2
	s_wait_dscnt 0x6
	v_mul_f64_e32 v[32:33], v[58:59], v[6:7]
	s_wait_dscnt 0x5
	v_mul_f64_e32 v[34:35], v[54:55], v[10:11]
	v_mul_f64_e32 v[36:37], v[58:59], v[4:5]
	;; [unrolled: 1-line block ×3, first 2 shown]
	s_wait_dscnt 0x4
	v_mul_f64_e32 v[54:55], v[50:51], v[14:15]
	s_wait_dscnt 0x3
	v_mul_f64_e32 v[58:59], v[46:47], v[18:19]
	v_mul_f64_e32 v[50:51], v[50:51], v[12:13]
	;; [unrolled: 1-line block ×3, first 2 shown]
	s_wait_dscnt 0x1
	v_mul_f64_e32 v[118:119], v[62:63], v[26:27]
	v_mul_f64_e32 v[62:63], v[62:63], v[24:25]
	;; [unrolled: 1-line block ×4, first 2 shown]
	v_fma_f64 v[32:33], v[56:57], v[4:5], v[32:33]
	v_fma_f64 v[34:35], v[52:53], v[8:9], v[34:35]
	v_fma_f64 v[36:37], v[56:57], v[6:7], -v[36:37]
	v_fma_f64 v[38:39], v[52:53], v[10:11], -v[38:39]
	ds_load_b128 v[4:7], v255
	ds_load_b128 v[8:11], v255 offset:2912
	v_fma_f64 v[16:17], v[44:45], v[16:17], v[58:59]
	v_fma_f64 v[14:15], v[48:49], v[14:15], -v[50:51]
	v_fma_f64 v[18:19], v[44:45], v[18:19], -v[46:47]
	global_wb scope:SCOPE_SE
	s_wait_dscnt 0x0
	v_fma_f64 v[26:27], v[60:61], v[26:27], -v[62:63]
	s_barrier_signal -1
	s_barrier_wait -1
	global_inv scope:SCOPE_SE
	v_fma_f64 v[12:13], v[48:49], v[12:13], v[54:55]
	v_fma_f64 v[20:21], v[64:65], v[20:21], v[116:117]
	;; [unrolled: 1-line block ×3, first 2 shown]
	v_fma_f64 v[22:23], v[64:65], v[22:23], -v[66:67]
	v_add_f64_e32 v[56:57], v[4:5], v[32:33]
	v_add_f64_e32 v[44:45], v[32:33], v[34:35]
	v_add_f64_e64 v[32:33], v[32:33], -v[34:35]
	v_add_f64_e32 v[46:47], v[36:37], v[38:39]
	v_add_f64_e64 v[58:59], v[36:37], -v[38:39]
	v_add_f64_e32 v[36:37], v[6:7], v[36:37]
	v_add_f64_e32 v[62:63], v[10:11], v[14:15]
	;; [unrolled: 1-line block ×9, first 2 shown]
	v_fma_f64 v[4:5], v[44:45], -0.5, v[4:5]
	v_add_f64_e64 v[44:45], v[14:15], -v[18:19]
	v_fma_f64 v[6:7], v[46:47], -0.5, v[6:7]
	v_add_f64_e64 v[46:47], v[12:13], -v[16:17]
	v_add_f64_e32 v[14:15], v[36:37], v[38:39]
	scratch_load_b32 v36, off, off offset:76 th:TH_LOAD_LU ; 4-byte Folded Reload
	v_add_f64_e32 v[12:13], v[56:57], v[34:35]
	v_fma_f64 v[10:11], v[50:51], -0.5, v[10:11]
	v_add_f64_e32 v[18:19], v[62:63], v[18:19]
	v_fma_f64 v[8:9], v[48:49], -0.5, v[8:9]
	v_add_f64_e64 v[48:49], v[22:23], -v[26:27]
	v_fma_f64 v[50:51], v[52:53], -0.5, v[28:29]
	v_add_f64_e64 v[52:53], v[20:21], -v[24:25]
	v_add_f64_e32 v[20:21], v[64:65], v[24:25]
	v_add_f64_e32 v[22:23], v[66:67], v[26:27]
	v_fma_f64 v[54:55], v[54:55], -0.5, v[30:31]
	v_add_f64_e32 v[16:17], v[60:61], v[16:17]
	v_fma_f64 v[24:25], v[58:59], s[2:3], v[4:5]
	s_wait_alu 0xfffe
	v_fma_f64 v[28:29], v[58:59], s[10:11], v[4:5]
	v_fma_f64 v[26:27], v[32:33], s[10:11], v[6:7]
	;; [unrolled: 1-line block ×3, first 2 shown]
	s_wait_loadcnt 0x0
	ds_store_b128 v36, v[12:15]
	ds_store_b128 v36, v[24:27] offset:416
	ds_store_b128 v36, v[28:31] offset:832
	scratch_load_b32 v12, off, off offset:72 th:TH_LOAD_LU ; 4-byte Folded Reload
	v_fma_f64 v[32:33], v[44:45], s[2:3], v[8:9]
	v_fma_f64 v[34:35], v[46:47], s[10:11], v[10:11]
	;; [unrolled: 1-line block ×8, first 2 shown]
	s_wait_loadcnt 0x0
	ds_store_b128 v12, v[16:19]
	ds_store_b128 v12, v[32:35] offset:416
	ds_store_b128 v12, v[44:47] offset:832
	scratch_load_b32 v12, off, off offset:68 th:TH_LOAD_LU ; 4-byte Folded Reload
	s_wait_loadcnt 0x0
	ds_store_b128 v12, v[20:23]
	ds_store_b128 v12, v[4:7] offset:416
	ds_store_b128 v12, v[8:11] offset:832
	global_wb scope:SCOPE_SE
	s_wait_dscnt 0x0
	s_barrier_signal -1
	s_barrier_wait -1
	global_inv scope:SCOPE_SE
	ds_load_b128 v[12:15], v255
	ds_load_b128 v[56:59], v255 offset:3744
	ds_load_b128 v[52:55], v255 offset:7488
	;; [unrolled: 1-line block ×6, first 2 shown]
	s_and_saveexec_b32 s0, s1
	s_cbranch_execz .LBB0_27
; %bb.26:
	ds_load_b128 v[4:7], v255 offset:2912
	ds_load_b128 v[8:11], v255 offset:6656
	;; [unrolled: 1-line block ×7, first 2 shown]
	s_wait_dscnt 0x0
	scratch_store_b128 off, v[20:23], off offset:12 ; 16-byte Folded Spill
.LBB0_27:
	s_wait_alu 0xfffe
	s_or_b32 exec_lo, exec_lo, s0
	s_wait_dscnt 0x5
	v_mul_f64_e32 v[20:21], v[82:83], v[58:59]
	v_mul_f64_e32 v[22:23], v[82:83], v[56:57]
	s_wait_dscnt 0x4
	v_mul_f64_e32 v[24:25], v[78:79], v[54:55]
	v_mul_f64_e32 v[26:27], v[78:79], v[52:53]
	;; [unrolled: 3-line block ×3, first 2 shown]
	v_mul_f64_e32 v[32:33], v[70:71], v[50:51]
	v_mul_f64_e32 v[34:35], v[70:71], v[48:49]
	v_mul_f64_e32 v[36:37], v[90:91], v[46:47]
	v_mul_f64_e32 v[38:39], v[90:91], v[44:45]
	v_mul_f64_e32 v[64:65], v[86:87], v[18:19]
	v_mul_f64_e32 v[66:67], v[86:87], v[16:17]
	s_mov_b32 s10, 0x37e14327
	s_mov_b32 s16, 0xe976ee23
	;; [unrolled: 1-line block ×16, first 2 shown]
	s_wait_alu 0xfffe
	s_mov_b32 s22, s18
	s_mov_b32 s26, s24
	s_mov_b32 s28, 0x37c3f68c
	s_mov_b32 s29, 0xbfdc38aa
	global_wb scope:SCOPE_SE
	s_wait_storecnt 0x0
	s_barrier_signal -1
	s_barrier_wait -1
	global_inv scope:SCOPE_SE
	v_fma_f64 v[20:21], v[80:81], v[56:57], v[20:21]
	v_fma_f64 v[22:23], v[80:81], v[58:59], -v[22:23]
	v_fma_f64 v[24:25], v[76:77], v[52:53], v[24:25]
	v_fma_f64 v[26:27], v[76:77], v[54:55], -v[26:27]
	;; [unrolled: 2-line block ×6, first 2 shown]
	v_add_f64_e32 v[44:45], v[20:21], v[28:29]
	v_add_f64_e32 v[46:47], v[22:23], v[30:31]
	;; [unrolled: 1-line block ×4, first 2 shown]
	v_add_f64_e64 v[24:25], v[24:25], -v[32:33]
	v_add_f64_e64 v[26:27], v[26:27], -v[34:35]
	v_add_f64_e32 v[32:33], v[36:37], v[16:17]
	v_add_f64_e32 v[34:35], v[38:39], v[18:19]
	v_add_f64_e64 v[16:17], v[16:17], -v[36:37]
	v_add_f64_e64 v[18:19], v[18:19], -v[38:39]
	;; [unrolled: 1-line block ×4, first 2 shown]
	v_add_f64_e32 v[28:29], v[48:49], v[44:45]
	v_add_f64_e32 v[30:31], v[50:51], v[46:47]
	v_add_f64_e64 v[36:37], v[44:45], -v[32:33]
	v_add_f64_e64 v[38:39], v[46:47], -v[34:35]
	;; [unrolled: 1-line block ×6, first 2 shown]
	v_add_f64_e32 v[24:25], v[16:17], v[24:25]
	v_add_f64_e32 v[26:27], v[18:19], v[26:27]
	v_add_f64_e64 v[16:17], v[20:21], -v[16:17]
	v_add_f64_e64 v[18:19], v[22:23], -v[18:19]
	;; [unrolled: 1-line block ×4, first 2 shown]
	v_add_f64_e32 v[28:29], v[32:33], v[28:29]
	v_add_f64_e32 v[30:31], v[34:35], v[30:31]
	v_add_f64_e64 v[32:33], v[32:33], -v[48:49]
	v_add_f64_e64 v[34:35], v[34:35], -v[50:51]
	v_mul_f64_e32 v[36:37], s[10:11], v[36:37]
	v_mul_f64_e32 v[38:39], s[10:11], v[38:39]
	;; [unrolled: 1-line block ×6, first 2 shown]
	v_add_f64_e32 v[20:21], v[24:25], v[20:21]
	v_add_f64_e32 v[22:23], v[26:27], v[22:23]
	;; [unrolled: 1-line block ×4, first 2 shown]
	v_mul_f64_e32 v[48:49], s[20:21], v[32:33]
	v_mul_f64_e32 v[50:51], s[20:21], v[34:35]
	v_fma_f64 v[24:25], v[32:33], s[20:21], v[36:37]
	v_fma_f64 v[26:27], v[34:35], s[20:21], v[38:39]
	;; [unrolled: 1-line block ×4, first 2 shown]
	v_fma_f64 v[52:53], v[56:57], s[2:3], -v[52:53]
	v_fma_f64 v[54:55], v[58:59], s[2:3], -v[54:55]
	s_wait_alu 0xfffe
	v_fma_f64 v[16:17], v[16:17], s[26:27], -v[60:61]
	v_fma_f64 v[18:19], v[18:19], s[26:27], -v[62:63]
	;; [unrolled: 1-line block ×4, first 2 shown]
	v_fma_f64 v[28:29], v[28:29], s[14:15], v[12:13]
	v_fma_f64 v[30:31], v[30:31], s[14:15], v[14:15]
	v_fma_f64 v[44:45], v[44:45], s[18:19], -v[48:49]
	v_fma_f64 v[46:47], v[46:47], s[18:19], -v[50:51]
	v_fma_f64 v[48:49], v[20:21], s[28:29], v[32:33]
	v_fma_f64 v[50:51], v[22:23], s[28:29], v[34:35]
	;; [unrolled: 1-line block ×6, first 2 shown]
	v_add_f64_e32 v[56:57], v[24:25], v[28:29]
	v_add_f64_e32 v[58:59], v[26:27], v[30:31]
	;; [unrolled: 1-line block ×7, first 2 shown]
	v_add_f64_e64 v[18:19], v[58:59], -v[48:49]
	v_add_f64_e32 v[20:21], v[54:55], v[36:37]
	v_add_f64_e64 v[22:23], v[38:39], -v[52:53]
	v_add_f64_e64 v[24:25], v[28:29], -v[34:35]
	v_add_f64_e32 v[26:27], v[32:33], v[30:31]
	v_add_f64_e32 v[28:29], v[34:35], v[28:29]
	v_add_f64_e64 v[30:31], v[30:31], -v[32:33]
	v_add_f64_e64 v[32:33], v[36:37], -v[54:55]
	v_add_f64_e32 v[34:35], v[52:53], v[38:39]
	v_add_f64_e64 v[44:45], v[56:57], -v[50:51]
	v_add_f64_e32 v[46:47], v[48:49], v[58:59]
	ds_store_b128 v192, v[12:15]
	ds_store_b128 v192, v[16:19] offset:1248
	ds_store_b128 v192, v[20:23] offset:2496
	;; [unrolled: 1-line block ×6, first 2 shown]
	s_and_saveexec_b32 s0, s1
	s_cbranch_execz .LBB0_29
; %bb.28:
	s_clause 0x3
	scratch_load_b128 v[48:51], off, off offset:116 th:TH_LOAD_LU
	scratch_load_b128 v[58:61], off, off offset:12 th:TH_LOAD_LU
	;; [unrolled: 1-line block ×4, first 2 shown]
	v_mul_f64_e32 v[16:17], v[42:43], v[140:141]
	v_mul_f64_e32 v[26:27], v[42:43], v[142:143]
	scratch_load_b128 v[54:57], off, off offset:148 th:TH_LOAD_LU ; 16-byte Folded Reload
	s_wait_loadcnt 0x3
	v_mul_f64_e32 v[12:13], v[50:51], v[58:59]
	v_mul_f64_e32 v[22:23], v[50:51], v[60:61]
	scratch_load_b128 v[50:53], off, off offset:132 th:TH_LOAD_LU ; 16-byte Folded Reload
	s_wait_loadcnt 0x3
	v_mul_f64_e32 v[14:15], v[46:47], v[8:9]
	s_wait_loadcnt 0x2
	v_mul_f64_e32 v[18:19], v[38:39], v[0:1]
	v_mul_f64_e32 v[20:21], v[46:47], v[10:11]
	;; [unrolled: 1-line block ×3, first 2 shown]
	s_wait_loadcnt 0x1
	v_mul_f64_e32 v[30:31], v[56:57], v[150:151]
	v_mul_f64_e32 v[32:33], v[56:57], v[148:149]
	v_fma_f64 v[12:13], v[48:49], v[60:61], -v[12:13]
	v_fma_f64 v[10:11], v[44:45], v[10:11], -v[14:15]
	;; [unrolled: 1-line block ×4, first 2 shown]
	v_fma_f64 v[8:9], v[44:45], v[8:9], v[20:21]
	v_fma_f64 v[16:17], v[48:49], v[58:59], v[22:23]
	;; [unrolled: 1-line block ×5, first 2 shown]
	v_fma_f64 v[24:25], v[54:55], v[150:151], -v[32:33]
	v_add_f64_e32 v[30:31], v[2:3], v[14:15]
	v_add_f64_e64 v[2:3], v[2:3], -v[14:15]
	v_add_f64_e32 v[32:33], v[8:9], v[16:17]
	v_add_f64_e64 v[8:9], v[8:9], -v[16:17]
	s_wait_loadcnt 0x0
	v_mul_f64_e32 v[28:29], v[52:53], v[146:147]
	v_mul_f64_e32 v[34:35], v[52:53], v[144:145]
	s_delay_alu instid0(VALU_DEP_2) | instskip(NEXT) | instid1(VALU_DEP_2)
	v_fma_f64 v[20:21], v[50:51], v[144:145], v[28:29]
	v_fma_f64 v[26:27], v[50:51], v[146:147], -v[34:35]
	v_add_f64_e32 v[28:29], v[10:11], v[12:13]
	v_add_f64_e32 v[34:35], v[0:1], v[18:19]
	v_add_f64_e64 v[0:1], v[0:1], -v[18:19]
	v_add_f64_e64 v[10:11], v[10:11], -v[12:13]
	;; [unrolled: 1-line block ×3, first 2 shown]
	v_add_f64_e32 v[18:19], v[24:25], v[26:27]
	v_add_f64_e32 v[20:21], v[22:23], v[20:21]
	v_add_f64_e32 v[16:17], v[30:31], v[28:29]
	v_add_f64_e64 v[22:23], v[26:27], -v[24:25]
	v_add_f64_e32 v[12:13], v[34:35], v[32:33]
	v_add_f64_e64 v[38:39], v[0:1], -v[8:9]
	v_add_f64_e64 v[42:43], v[2:3], -v[10:11]
	;; [unrolled: 1-line block ×5, first 2 shown]
	v_add_f64_e32 v[16:17], v[18:19], v[16:17]
	v_add_f64_e64 v[18:19], v[18:19], -v[30:31]
	v_add_f64_e64 v[40:41], v[22:23], -v[2:3]
	v_add_f64_e32 v[12:13], v[20:21], v[12:13]
	v_add_f64_e64 v[20:21], v[20:21], -v[34:35]
	v_add_f64_e64 v[44:45], v[8:9], -v[36:37]
	v_add_f64_e32 v[36:37], v[36:37], v[0:1]
	v_add_f64_e32 v[46:47], v[22:23], v[2:3]
	v_mul_f64_e32 v[48:49], s[2:3], v[38:39]
	v_add_f64_e64 v[22:23], v[10:11], -v[22:23]
	v_mul_f64_e32 v[14:15], s[16:17], v[14:15]
	v_mul_f64_e32 v[24:25], s[10:11], v[24:25]
	;; [unrolled: 1-line block ×3, first 2 shown]
	v_add_f64_e32 v[2:3], v[6:7], v[16:17]
	v_add_f64_e64 v[6:7], v[30:31], -v[28:29]
	v_mul_f64_e32 v[28:29], s[20:21], v[18:19]
	v_mul_f64_e32 v[30:31], s[16:17], v[40:41]
	v_add_f64_e32 v[0:1], v[4:5], v[12:13]
	v_add_f64_e64 v[4:5], v[34:35], -v[32:33]
	v_mul_f64_e32 v[32:33], s[20:21], v[20:21]
	v_mul_f64_e32 v[40:41], s[2:3], v[42:43]
	v_add_f64_e32 v[8:9], v[36:37], v[8:9]
	v_add_f64_e32 v[10:11], v[46:47], v[10:11]
	v_fma_f64 v[36:37], v[44:45], s[26:27], -v[48:49]
	v_fma_f64 v[34:35], v[44:45], s[24:25], v[14:15]
	v_fma_f64 v[18:19], v[18:19], s[20:21], v[24:25]
	;; [unrolled: 1-line block ×3, first 2 shown]
	v_fma_f64 v[14:15], v[38:39], s[2:3], -v[14:15]
	v_fma_f64 v[16:17], v[16:17], s[14:15], v[2:3]
	v_fma_f64 v[24:25], v[6:7], s[22:23], -v[24:25]
	v_fma_f64 v[6:7], v[6:7], s[18:19], -v[28:29]
	v_fma_f64 v[28:29], v[22:23], s[24:25], v[30:31]
	v_fma_f64 v[30:31], v[42:43], s[2:3], -v[30:31]
	v_fma_f64 v[12:13], v[12:13], s[14:15], v[0:1]
	v_fma_f64 v[26:27], v[4:5], s[22:23], -v[26:27]
	v_fma_f64 v[4:5], v[4:5], s[18:19], -v[32:33]
	;; [unrolled: 1-line block ×3, first 2 shown]
	v_fma_f64 v[32:33], v[8:9], s[28:29], v[34:35]
	v_fma_f64 v[34:35], v[8:9], s[28:29], v[36:37]
	;; [unrolled: 1-line block ×3, first 2 shown]
	v_add_f64_e32 v[36:37], v[18:19], v[16:17]
	v_add_f64_e32 v[24:25], v[24:25], v[16:17]
	;; [unrolled: 1-line block ×3, first 2 shown]
	v_fma_f64 v[28:29], v[10:11], s[28:29], v[28:29]
	v_fma_f64 v[30:31], v[10:11], s[28:29], v[30:31]
	v_add_f64_e32 v[40:41], v[20:21], v[12:13]
	v_add_f64_e32 v[42:43], v[26:27], v[12:13]
	;; [unrolled: 1-line block ×3, first 2 shown]
	v_fma_f64 v[38:39], v[10:11], s[28:29], v[22:23]
	v_add_f64_e64 v[26:27], v[36:37], -v[32:33]
	v_add_f64_e32 v[10:11], v[34:35], v[24:25]
	v_add_f64_e64 v[14:15], v[16:17], -v[8:9]
	v_add_f64_e32 v[18:19], v[8:9], v[16:17]
	;; [unrolled: 2-line block ×3, first 2 shown]
	v_add_f64_e32 v[6:7], v[32:33], v[36:37]
	v_add_f64_e64 v[16:17], v[4:5], -v[30:31]
	v_add_f64_e32 v[12:13], v[30:31], v[4:5]
	v_add_f64_e64 v[4:5], v[40:41], -v[28:29]
	scratch_load_b32 v28, off, off offset:80 th:TH_LOAD_LU ; 4-byte Folded Reload
	v_add_f64_e32 v[20:21], v[38:39], v[42:43]
	v_add_f64_e64 v[8:9], v[42:43], -v[38:39]
	s_wait_loadcnt 0x0
	v_lshlrev_b32_e32 v28, 4, v28
	ds_store_b128 v28, v[0:3] offset:17472
	ds_store_b128 v28, v[24:27] offset:18720
	;; [unrolled: 1-line block ×7, first 2 shown]
.LBB0_29:
	s_wait_alu 0xfffe
	s_or_b32 exec_lo, exec_lo, s0
	global_wb scope:SCOPE_SE
	s_wait_dscnt 0x0
	s_barrier_signal -1
	s_barrier_wait -1
	global_inv scope:SCOPE_SE
	ds_load_b128 v[0:3], v255 offset:8736
	ds_load_b128 v[4:7], v255 offset:17472
	;; [unrolled: 1-line block ×7, first 2 shown]
	s_mov_b32 s0, 0xe8584caa
	s_mov_b32 s1, 0xbfebb67a
	;; [unrolled: 1-line block ×3, first 2 shown]
	s_wait_alu 0xfffe
	s_mov_b32 s2, s0
	s_wait_dscnt 0x6
	v_mul_f64_e32 v[28:29], v[98:99], v[2:3]
	s_wait_dscnt 0x5
	v_mul_f64_e32 v[30:31], v[94:95], v[6:7]
	v_mul_f64_e32 v[32:33], v[98:99], v[0:1]
	v_mul_f64_e32 v[34:35], v[94:95], v[4:5]
	s_wait_dscnt 0x4
	v_mul_f64_e32 v[36:37], v[106:107], v[10:11]
	s_wait_dscnt 0x3
	v_mul_f64_e32 v[38:39], v[102:103], v[14:15]
	v_mul_f64_e32 v[40:41], v[106:107], v[8:9]
	v_mul_f64_e32 v[42:43], v[102:103], v[12:13]
	;; [unrolled: 6-line block ×3, first 2 shown]
	v_fma_f64 v[28:29], v[96:97], v[0:1], v[28:29]
	v_fma_f64 v[30:31], v[92:93], v[4:5], v[30:31]
	v_fma_f64 v[32:33], v[96:97], v[2:3], -v[32:33]
	v_fma_f64 v[34:35], v[92:93], v[6:7], -v[34:35]
	v_fma_f64 v[8:9], v[104:105], v[8:9], v[36:37]
	v_fma_f64 v[12:13], v[100:101], v[12:13], v[38:39]
	v_fma_f64 v[10:11], v[104:105], v[10:11], -v[40:41]
	v_fma_f64 v[14:15], v[100:101], v[14:15], -v[42:43]
	;; [unrolled: 4-line block ×3, first 2 shown]
	ds_load_b128 v[0:3], v255
	ds_load_b128 v[4:7], v255 offset:2912
	s_wait_dscnt 0x1
	v_add_f64_e32 v[48:49], v[0:1], v[28:29]
	v_add_f64_e32 v[36:37], v[28:29], v[30:31]
	v_add_f64_e64 v[28:29], v[28:29], -v[30:31]
	v_add_f64_e32 v[38:39], v[32:33], v[34:35]
	v_add_f64_e64 v[50:51], v[32:33], -v[34:35]
	v_add_f64_e32 v[40:41], v[8:9], v[12:13]
	v_add_f64_e32 v[32:33], v[2:3], v[32:33]
	;; [unrolled: 1-line block ×3, first 2 shown]
	s_wait_dscnt 0x0
	v_add_f64_e32 v[52:53], v[4:5], v[8:9]
	v_add_f64_e32 v[44:45], v[16:17], v[20:21]
	;; [unrolled: 1-line block ×4, first 2 shown]
	v_add_f64_e64 v[60:61], v[10:11], -v[14:15]
	v_add_f64_e64 v[62:63], v[8:9], -v[12:13]
	v_add_f64_e32 v[56:57], v[24:25], v[16:17]
	v_add_f64_e32 v[58:59], v[26:27], v[18:19]
	v_add_f64_e64 v[64:65], v[18:19], -v[22:23]
	v_add_f64_e64 v[66:67], v[16:17], -v[20:21]
	v_fma_f64 v[36:37], v[36:37], -0.5, v[0:1]
	v_add_f64_e32 v[0:1], v[48:49], v[30:31]
	v_fma_f64 v[38:39], v[38:39], -0.5, v[2:3]
	v_fma_f64 v[40:41], v[40:41], -0.5, v[4:5]
	v_add_f64_e32 v[2:3], v[32:33], v[34:35]
	v_fma_f64 v[42:43], v[42:43], -0.5, v[6:7]
	v_add_f64_e32 v[4:5], v[52:53], v[12:13]
	;; [unrolled: 2-line block ×4, first 2 shown]
	v_add_f64_e32 v[10:11], v[58:59], v[22:23]
	s_wait_alu 0xfffe
	v_fma_f64 v[16:17], v[50:51], s[2:3], v[36:37]
	v_fma_f64 v[12:13], v[50:51], s[0:1], v[36:37]
	v_fma_f64 v[18:19], v[28:29], s[0:1], v[38:39]
	v_fma_f64 v[14:15], v[28:29], s[2:3], v[38:39]
	v_fma_f64 v[24:25], v[60:61], s[2:3], v[40:41]
	v_fma_f64 v[20:21], v[60:61], s[0:1], v[40:41]
	v_fma_f64 v[26:27], v[62:63], s[0:1], v[42:43]
	v_fma_f64 v[22:23], v[62:63], s[2:3], v[42:43]
	v_fma_f64 v[28:29], v[64:65], s[0:1], v[44:45]
	v_fma_f64 v[32:33], v[64:65], s[2:3], v[44:45]
	v_fma_f64 v[30:31], v[66:67], s[2:3], v[46:47]
	v_fma_f64 v[34:35], v[66:67], s[0:1], v[46:47]
	ds_store_b128 v255, v[0:3]
	ds_store_b128 v255, v[4:7] offset:2912
	ds_store_b128 v255, v[16:19] offset:17472
	;; [unrolled: 1-line block ×8, first 2 shown]
	global_wb scope:SCOPE_SE
	s_wait_dscnt 0x0
	s_barrier_signal -1
	s_barrier_wait -1
	global_inv scope:SCOPE_SE
	s_and_b32 exec_lo, exec_lo, vcc_lo
	s_cbranch_execz .LBB0_31
; %bb.30:
	s_clause 0xb
	global_load_b128 v[0:3], v255, s[8:9]
	global_load_b128 v[4:7], v255, s[8:9] offset:2016
	global_load_b128 v[8:11], v255, s[8:9] offset:4032
	;; [unrolled: 1-line block ×11, first 2 shown]
	s_clause 0x1
	scratch_load_b64 v[48:49], off, off offset:4 th:TH_LOAD_LU
	scratch_load_b32 v65, off, off th:TH_LOAD_LU
	s_mul_u64 s[0:1], s[4:5], 0x7e0
	s_mov_b32 s2, 0x14014014
	s_mov_b32 s3, 0x3f440140
	s_wait_loadcnt 0x1
	v_mov_b32_e32 v49, v48
	s_wait_loadcnt 0x0
	v_mad_co_u64_u32 v[100:101], null, s4, v65, 0
	s_delay_alu instid0(VALU_DEP_2) | instskip(NEXT) | instid1(VALU_DEP_1)
	v_mad_co_u64_u32 v[88:89], null, s6, v49, 0
	v_mov_b32_e32 v48, v89
	s_delay_alu instid0(VALU_DEP_1) | instskip(NEXT) | instid1(VALU_DEP_4)
	v_mad_co_u64_u32 v[72:73], null, s7, v49, v[48:49]
	v_mov_b32_e32 v64, v101
	ds_load_b128 v[48:51], v255
	ds_load_b128 v[52:55], v255 offset:2016
	ds_load_b128 v[56:59], v255 offset:4032
	;; [unrolled: 1-line block ×3, first 2 shown]
	v_mov_b32_e32 v89, v72
	v_mad_co_u64_u32 v[90:91], null, s5, v65, v[64:65]
	ds_load_b128 v[64:67], v255 offset:8064
	ds_load_b128 v[68:71], v255 offset:10080
	ds_load_b128 v[72:75], v255 offset:12096
	ds_load_b128 v[76:79], v255 offset:14112
	ds_load_b128 v[80:83], v255 offset:16128
	ds_load_b128 v[84:87], v255 offset:18144
	v_lshlrev_b64_e32 v[102:103], 4, v[88:89]
	v_mov_b32_e32 v101, v90
	ds_load_b128 v[88:91], v255 offset:20160
	ds_load_b128 v[92:95], v255 offset:22176
	;; [unrolled: 1-line block ×3, first 2 shown]
	v_add_co_u32 v126, vcc_lo, s12, v102
	v_add_co_ci_u32_e32 v127, vcc_lo, s13, v103, vcc_lo
	s_wait_dscnt 0xc
	v_mul_f64_e32 v[102:103], v[50:51], v[2:3]
	v_mul_f64_e32 v[2:3], v[48:49], v[2:3]
	s_wait_dscnt 0xb
	v_mul_f64_e32 v[104:105], v[54:55], v[6:7]
	v_mul_f64_e32 v[6:7], v[52:53], v[6:7]
	;; [unrolled: 3-line block ×12, first 2 shown]
	v_lshlrev_b64_e32 v[100:101], 4, v[100:101]
	s_delay_alu instid0(VALU_DEP_1) | instskip(SKIP_1) | instid1(VALU_DEP_2)
	v_add_co_u32 v100, vcc_lo, v126, v100
	s_wait_alu 0xfffd
	v_add_co_ci_u32_e32 v101, vcc_lo, v127, v101, vcc_lo
	s_wait_alu 0xfffe
	s_delay_alu instid0(VALU_DEP_2) | instskip(SKIP_1) | instid1(VALU_DEP_2)
	v_add_co_u32 v126, vcc_lo, v100, s0
	s_wait_alu 0xfffd
	v_add_co_ci_u32_e32 v127, vcc_lo, s1, v101, vcc_lo
	v_fma_f64 v[48:49], v[48:49], v[0:1], v[102:103]
	v_fma_f64 v[2:3], v[0:1], v[50:51], -v[2:3]
	v_fma_f64 v[50:51], v[52:53], v[4:5], v[104:105]
	v_fma_f64 v[6:7], v[4:5], v[54:55], -v[6:7]
	;; [unrolled: 2-line block ×12, first 2 shown]
	v_add_co_u32 v128, vcc_lo, v126, s0
	s_wait_alu 0xfffd
	v_add_co_ci_u32_e32 v129, vcc_lo, s1, v127, vcc_lo
	s_delay_alu instid0(VALU_DEP_2) | instskip(SKIP_1) | instid1(VALU_DEP_2)
	v_add_co_u32 v72, vcc_lo, v128, s0
	s_wait_alu 0xfffd
	v_add_co_ci_u32_e32 v73, vcc_lo, s1, v129, vcc_lo
	s_delay_alu instid0(VALU_DEP_2) | instskip(SKIP_1) | instid1(VALU_DEP_2)
	v_add_co_u32 v74, vcc_lo, v72, s0
	s_wait_alu 0xfffd
	v_add_co_ci_u32_e32 v75, vcc_lo, s1, v73, vcc_lo
	v_mul_f64_e32 v[0:1], s[2:3], v[48:49]
	v_mul_f64_e32 v[2:3], s[2:3], v[2:3]
	;; [unrolled: 1-line block ×12, first 2 shown]
	v_add_co_u32 v76, vcc_lo, v74, s0
	v_mul_f64_e32 v[24:25], s[2:3], v[60:61]
	v_mul_f64_e32 v[26:27], s[2:3], v[26:27]
	;; [unrolled: 1-line block ×4, first 2 shown]
	s_wait_alu 0xfffd
	v_add_co_ci_u32_e32 v77, vcc_lo, s1, v75, vcc_lo
	v_mul_f64_e32 v[32:33], s[2:3], v[64:65]
	v_mul_f64_e32 v[34:35], s[2:3], v[34:35]
	;; [unrolled: 1-line block ×8, first 2 shown]
	v_add_co_u32 v48, vcc_lo, v76, s0
	s_wait_alu 0xfffd
	v_add_co_ci_u32_e32 v49, vcc_lo, s1, v77, vcc_lo
	s_delay_alu instid0(VALU_DEP_2) | instskip(SKIP_1) | instid1(VALU_DEP_2)
	v_add_co_u32 v50, vcc_lo, v48, s0
	s_wait_alu 0xfffd
	v_add_co_ci_u32_e32 v51, vcc_lo, s1, v49, vcc_lo
	s_delay_alu instid0(VALU_DEP_2) | instskip(SKIP_1) | instid1(VALU_DEP_2)
	;; [unrolled: 4-line block ×5, first 2 shown]
	v_add_co_u32 v58, vcc_lo, v56, s0
	s_wait_alu 0xfffd
	v_add_co_ci_u32_e32 v59, vcc_lo, s1, v57, vcc_lo
	s_clause 0x4
	global_store_b128 v[100:101], v[0:3], off
	global_store_b128 v[126:127], v[4:7], off
	global_store_b128 v[128:129], v[8:11], off
	global_store_b128 v[72:73], v[12:15], off
	global_store_b128 v[74:75], v[16:19], off
	global_store_b128 v[76:77], v[20:23], off
	global_store_b128 v[48:49], v[24:27], off
	global_store_b128 v[50:51], v[28:31], off
	global_store_b128 v[52:53], v[32:35], off
	global_store_b128 v[54:55], v[36:39], off
	global_store_b128 v[56:57], v[40:43], off
	global_store_b128 v[58:59], v[44:47], off
	global_load_b128 v[0:3], v255, s[8:9] offset:24192
	s_wait_loadcnt_dscnt 0x0
	v_mul_f64_e32 v[4:5], v[98:99], v[2:3]
	v_mul_f64_e32 v[2:3], v[96:97], v[2:3]
	s_delay_alu instid0(VALU_DEP_2) | instskip(NEXT) | instid1(VALU_DEP_2)
	v_fma_f64 v[4:5], v[96:97], v[0:1], v[4:5]
	v_fma_f64 v[2:3], v[0:1], v[98:99], -v[2:3]
	s_delay_alu instid0(VALU_DEP_2) | instskip(NEXT) | instid1(VALU_DEP_2)
	v_mul_f64_e32 v[0:1], s[2:3], v[4:5]
	v_mul_f64_e32 v[2:3], s[2:3], v[2:3]
	v_add_co_u32 v4, vcc_lo, v58, s0
	s_wait_alu 0xfffd
	v_add_co_ci_u32_e32 v5, vcc_lo, s1, v59, vcc_lo
	global_store_b128 v[4:5], v[0:3], off
.LBB0_31:
	s_endpgm
	.section	.rodata,"a",@progbits
	.p2align	6, 0x0
	.amdhsa_kernel bluestein_single_fwd_len1638_dim1_dp_op_CI_CI
		.amdhsa_group_segment_fixed_size 26208
		.amdhsa_private_segment_fixed_size 512
		.amdhsa_kernarg_size 104
		.amdhsa_user_sgpr_count 2
		.amdhsa_user_sgpr_dispatch_ptr 0
		.amdhsa_user_sgpr_queue_ptr 0
		.amdhsa_user_sgpr_kernarg_segment_ptr 1
		.amdhsa_user_sgpr_dispatch_id 0
		.amdhsa_user_sgpr_private_segment_size 0
		.amdhsa_wavefront_size32 1
		.amdhsa_uses_dynamic_stack 0
		.amdhsa_enable_private_segment 1
		.amdhsa_system_sgpr_workgroup_id_x 1
		.amdhsa_system_sgpr_workgroup_id_y 0
		.amdhsa_system_sgpr_workgroup_id_z 0
		.amdhsa_system_sgpr_workgroup_info 0
		.amdhsa_system_vgpr_workitem_id 0
		.amdhsa_next_free_vgpr 256
		.amdhsa_next_free_sgpr 48
		.amdhsa_reserve_vcc 1
		.amdhsa_float_round_mode_32 0
		.amdhsa_float_round_mode_16_64 0
		.amdhsa_float_denorm_mode_32 3
		.amdhsa_float_denorm_mode_16_64 3
		.amdhsa_fp16_overflow 0
		.amdhsa_workgroup_processor_mode 1
		.amdhsa_memory_ordered 1
		.amdhsa_forward_progress 0
		.amdhsa_round_robin_scheduling 0
		.amdhsa_exception_fp_ieee_invalid_op 0
		.amdhsa_exception_fp_denorm_src 0
		.amdhsa_exception_fp_ieee_div_zero 0
		.amdhsa_exception_fp_ieee_overflow 0
		.amdhsa_exception_fp_ieee_underflow 0
		.amdhsa_exception_fp_ieee_inexact 0
		.amdhsa_exception_int_div_zero 0
	.end_amdhsa_kernel
	.text
.Lfunc_end0:
	.size	bluestein_single_fwd_len1638_dim1_dp_op_CI_CI, .Lfunc_end0-bluestein_single_fwd_len1638_dim1_dp_op_CI_CI
                                        ; -- End function
	.section	.AMDGPU.csdata,"",@progbits
; Kernel info:
; codeLenInByte = 20672
; NumSgprs: 50
; NumVgprs: 256
; ScratchSize: 512
; MemoryBound: 0
; FloatMode: 240
; IeeeMode: 1
; LDSByteSize: 26208 bytes/workgroup (compile time only)
; SGPRBlocks: 6
; VGPRBlocks: 31
; NumSGPRsForWavesPerEU: 50
; NumVGPRsForWavesPerEU: 256
; Occupancy: 5
; WaveLimiterHint : 1
; COMPUTE_PGM_RSRC2:SCRATCH_EN: 1
; COMPUTE_PGM_RSRC2:USER_SGPR: 2
; COMPUTE_PGM_RSRC2:TRAP_HANDLER: 0
; COMPUTE_PGM_RSRC2:TGID_X_EN: 1
; COMPUTE_PGM_RSRC2:TGID_Y_EN: 0
; COMPUTE_PGM_RSRC2:TGID_Z_EN: 0
; COMPUTE_PGM_RSRC2:TIDIG_COMP_CNT: 0
	.text
	.p2alignl 7, 3214868480
	.fill 96, 4, 3214868480
	.type	__hip_cuid_b2ab17e508636bf,@object ; @__hip_cuid_b2ab17e508636bf
	.section	.bss,"aw",@nobits
	.globl	__hip_cuid_b2ab17e508636bf
__hip_cuid_b2ab17e508636bf:
	.byte	0                               ; 0x0
	.size	__hip_cuid_b2ab17e508636bf, 1

	.ident	"AMD clang version 19.0.0git (https://github.com/RadeonOpenCompute/llvm-project roc-6.4.0 25133 c7fe45cf4b819c5991fe208aaa96edf142730f1d)"
	.section	".note.GNU-stack","",@progbits
	.addrsig
	.addrsig_sym __hip_cuid_b2ab17e508636bf
	.amdgpu_metadata
---
amdhsa.kernels:
  - .args:
      - .actual_access:  read_only
        .address_space:  global
        .offset:         0
        .size:           8
        .value_kind:     global_buffer
      - .actual_access:  read_only
        .address_space:  global
        .offset:         8
        .size:           8
        .value_kind:     global_buffer
      - .actual_access:  read_only
        .address_space:  global
        .offset:         16
        .size:           8
        .value_kind:     global_buffer
      - .actual_access:  read_only
        .address_space:  global
        .offset:         24
        .size:           8
        .value_kind:     global_buffer
      - .actual_access:  read_only
        .address_space:  global
        .offset:         32
        .size:           8
        .value_kind:     global_buffer
      - .offset:         40
        .size:           8
        .value_kind:     by_value
      - .address_space:  global
        .offset:         48
        .size:           8
        .value_kind:     global_buffer
      - .address_space:  global
        .offset:         56
        .size:           8
        .value_kind:     global_buffer
      - .address_space:  global
        .offset:         64
        .size:           8
        .value_kind:     global_buffer
      - .address_space:  global
        .offset:         72
        .size:           8
        .value_kind:     global_buffer
      - .offset:         80
        .size:           4
        .value_kind:     by_value
      - .address_space:  global
        .offset:         88
        .size:           8
        .value_kind:     global_buffer
      - .address_space:  global
        .offset:         96
        .size:           8
        .value_kind:     global_buffer
    .group_segment_fixed_size: 26208
    .kernarg_segment_align: 8
    .kernarg_segment_size: 104
    .language:       OpenCL C
    .language_version:
      - 2
      - 0
    .max_flat_workgroup_size: 182
    .name:           bluestein_single_fwd_len1638_dim1_dp_op_CI_CI
    .private_segment_fixed_size: 512
    .sgpr_count:     50
    .sgpr_spill_count: 0
    .symbol:         bluestein_single_fwd_len1638_dim1_dp_op_CI_CI.kd
    .uniform_work_group_size: 1
    .uses_dynamic_stack: false
    .vgpr_count:     256
    .vgpr_spill_count: 137
    .wavefront_size: 32
    .workgroup_processor_mode: 1
amdhsa.target:   amdgcn-amd-amdhsa--gfx1201
amdhsa.version:
  - 1
  - 2
...

	.end_amdgpu_metadata
